;; amdgpu-corpus repo=ROCm/rocFFT kind=compiled arch=gfx1201 opt=O3
	.text
	.amdgcn_target "amdgcn-amd-amdhsa--gfx1201"
	.amdhsa_code_object_version 6
	.protected	bluestein_single_fwd_len189_dim1_sp_op_CI_CI ; -- Begin function bluestein_single_fwd_len189_dim1_sp_op_CI_CI
	.globl	bluestein_single_fwd_len189_dim1_sp_op_CI_CI
	.p2align	8
	.type	bluestein_single_fwd_len189_dim1_sp_op_CI_CI,@function
bluestein_single_fwd_len189_dim1_sp_op_CI_CI: ; @bluestein_single_fwd_len189_dim1_sp_op_CI_CI
; %bb.0:
	s_load_b128 s[12:15], s[0:1], 0x28
	v_mul_u32_u24_e32 v1, 0xc31, v0
	s_mov_b32 s2, exec_lo
	s_delay_alu instid0(VALU_DEP_1) | instskip(NEXT) | instid1(VALU_DEP_1)
	v_lshrrev_b32_e32 v1, 16, v1
	v_mad_co_u64_u32 v[60:61], null, ttmp9, 3, v[1:2]
	v_mov_b32_e32 v61, 0
	s_wait_kmcnt 0x0
	s_delay_alu instid0(VALU_DEP_1)
	v_cmpx_gt_u64_e64 s[12:13], v[60:61]
	s_cbranch_execz .LBB0_15
; %bb.1:
	s_clause 0x1
	s_load_b128 s[4:7], s[0:1], 0x18
	s_load_b64 s[12:13], s[0:1], 0x0
	v_mul_lo_u16 v1, v1, 21
	v_mul_hi_u32 v18, 0xaaaaaaab, v60
	s_delay_alu instid0(VALU_DEP_2) | instskip(NEXT) | instid1(VALU_DEP_2)
	v_sub_nc_u16 v22, v0, v1
	v_lshrrev_b32_e32 v18, 1, v18
	s_delay_alu instid0(VALU_DEP_2) | instskip(NEXT) | instid1(VALU_DEP_2)
	v_and_b32_e32 v81, 0xffff, v22
	v_lshl_add_u32 v18, v18, 1, v18
	s_delay_alu instid0(VALU_DEP_2) | instskip(SKIP_2) | instid1(VALU_DEP_2)
	v_lshlrev_b32_e32 v44, 3, v81
	s_wait_kmcnt 0x0
	s_load_b128 s[8:11], s[4:5], 0x0
	v_sub_nc_u32_e32 v18, v60, v18
	s_clause 0x4
	global_load_b64 v[67:68], v44, s[12:13]
	global_load_b64 v[69:70], v44, s[12:13] offset:216
	global_load_b64 v[61:62], v44, s[12:13] offset:432
	;; [unrolled: 1-line block ×4, first 2 shown]
	v_mul_u32_u24_e32 v18, 0xbd, v18
	s_delay_alu instid0(VALU_DEP_1) | instskip(SKIP_4) | instid1(VALU_DEP_1)
	v_lshlrev_b32_e32 v82, 3, v18
	s_wait_kmcnt 0x0
	v_mad_co_u64_u32 v[0:1], null, s10, v60, 0
	v_mad_co_u64_u32 v[2:3], null, s8, v81, 0
	s_mul_u64 s[2:3], s[8:9], 27
	v_mad_co_u64_u32 v[4:5], null, s11, v60, v[1:2]
	s_delay_alu instid0(VALU_DEP_1) | instskip(SKIP_1) | instid1(VALU_DEP_1)
	v_mad_co_u64_u32 v[5:6], null, s9, v81, v[3:4]
	v_mov_b32_e32 v1, v4
	v_lshlrev_b64_e32 v[0:1], 3, v[0:1]
	s_delay_alu instid0(VALU_DEP_3) | instskip(NEXT) | instid1(VALU_DEP_1)
	v_mov_b32_e32 v3, v5
	v_lshlrev_b64_e32 v[4:5], 3, v[2:3]
	s_delay_alu instid0(VALU_DEP_3) | instskip(NEXT) | instid1(VALU_DEP_4)
	v_add_co_u32 v2, vcc_lo, s14, v0
	v_add_co_ci_u32_e32 v3, vcc_lo, s15, v1, vcc_lo
	s_lshl_b64 s[14:15], s[2:3], 3
	s_delay_alu instid0(VALU_DEP_2) | instskip(SKIP_1) | instid1(VALU_DEP_2)
	v_add_co_u32 v0, vcc_lo, v2, v4
	s_wait_alu 0xfffd
	v_add_co_ci_u32_e32 v1, vcc_lo, v3, v5, vcc_lo
	v_add_co_u32 v58, s2, s12, v44
	s_wait_alu 0xfffe
	v_add_co_u32 v4, vcc_lo, v0, s14
	s_wait_alu 0xfffd
	v_add_co_ci_u32_e32 v5, vcc_lo, s15, v1, vcc_lo
	global_load_b64 v[8:9], v[0:1], off
	v_add_co_u32 v6, vcc_lo, v4, s14
	s_wait_alu 0xfffd
	v_add_co_ci_u32_e32 v7, vcc_lo, s15, v5, vcc_lo
	global_load_b64 v[4:5], v[4:5], off
	v_add_co_u32 v0, vcc_lo, v6, s14
	s_wait_alu 0xfffd
	v_add_co_ci_u32_e32 v1, vcc_lo, s15, v7, vcc_lo
	s_clause 0x1
	global_load_b64 v[6:7], v[6:7], off
	global_load_b64 v[12:13], v[0:1], off
	v_add_co_u32 v10, vcc_lo, v0, s14
	s_wait_alu 0xfffd
	v_add_co_ci_u32_e32 v11, vcc_lo, s15, v1, vcc_lo
	v_add_co_ci_u32_e64 v59, null, s13, 0, s2
	s_delay_alu instid0(VALU_DEP_3) | instskip(SKIP_1) | instid1(VALU_DEP_3)
	v_add_co_u32 v14, vcc_lo, v10, s14
	s_wait_alu 0xfffd
	v_add_co_ci_u32_e32 v15, vcc_lo, s15, v11, vcc_lo
	global_load_b64 v[10:11], v[10:11], off
	v_add_co_u32 v0, vcc_lo, v14, s14
	s_wait_alu 0xfffd
	v_add_co_ci_u32_e32 v1, vcc_lo, s15, v15, vcc_lo
	global_load_b64 v[14:15], v[14:15], off
	s_clause 0x1
	global_load_b64 v[71:72], v44, s[12:13] offset:1080
	global_load_b64 v[73:74], v44, s[12:13] offset:1296
	global_load_b64 v[16:17], v[0:1], off
	s_load_b64 s[10:11], s[0:1], 0x38
	s_load_b128 s[4:7], s[6:7], 0x0
	v_add_nc_u32_e32 v80, v44, v82
	v_cmp_gt_u16_e32 vcc_lo, 6, v22
	s_wait_loadcnt 0x8
	v_mul_f32_e32 v19, v8, v68
	v_mul_f32_e32 v18, v9, v68
	v_or_b32_e32 v79, 48, v81
	s_wait_loadcnt 0x7
	v_mul_f32_e32 v20, v5, v70
	v_mul_f32_e32 v21, v4, v70
	v_fmac_f32_e32 v18, v8, v67
	v_fma_f32 v19, v9, v67, -v19
	s_delay_alu instid0(VALU_DEP_4)
	v_fmac_f32_e32 v20, v4, v69
	s_wait_loadcnt 0x5
	v_dual_mul_f32 v4, v7, v62 :: v_dual_mul_f32 v9, v12, v64
	v_mul_f32_e32 v8, v13, v64
	v_fma_f32 v21, v5, v69, -v21
	v_mul_f32_e32 v5, v6, v62
	s_delay_alu instid0(VALU_DEP_4) | instskip(SKIP_2) | instid1(VALU_DEP_4)
	v_fmac_f32_e32 v4, v6, v61
	v_fma_f32 v9, v13, v63, -v9
	v_fmac_f32_e32 v8, v12, v63
	v_fma_f32 v5, v7, v61, -v5
	s_wait_loadcnt 0x4
	v_mul_f32_e32 v6, v11, v66
	v_mul_f32_e32 v7, v10, v66
	s_wait_loadcnt 0x2
	v_mul_f32_e32 v13, v14, v72
	s_wait_loadcnt 0x0
	v_dual_mul_f32 v23, v16, v74 :: v_dual_fmac_f32 v6, v10, v65
	v_mul_f32_e32 v10, v15, v72
	v_mul_f32_e32 v12, v17, v74
	v_fma_f32 v7, v11, v65, -v7
	v_fma_f32 v11, v15, v71, -v13
	;; [unrolled: 1-line block ×3, first 2 shown]
	v_fmac_f32_e32 v10, v14, v71
	v_fmac_f32_e32 v12, v16, v73
	ds_store_2addr_b64 v80, v[18:19], v[20:21] offset1:27
	ds_store_2addr_b64 v80, v[4:5], v[8:9] offset0:54 offset1:81
	ds_store_2addr_b64 v80, v[6:7], v[10:11] offset0:108 offset1:135
	ds_store_b64 v80, v[12:13] offset:1296
	s_and_saveexec_b32 s3, vcc_lo
	s_cbranch_execz .LBB0_3
; %bb.2:
	v_mad_co_u64_u32 v[0:1], null, 0xfffffb98, s8, v[0:1]
	v_mad_co_u64_u32 v[4:5], null, s8, v79, 0
	s_mul_i32 s2, s9, 0xfffffb98
	s_wait_alu 0xfffe
	s_sub_co_i32 s2, s2, s8
	s_wait_alu 0xfffe
	s_delay_alu instid0(VALU_DEP_2) | instskip(NEXT) | instid1(VALU_DEP_2)
	v_add_nc_u32_e32 v1, s2, v1
	v_mad_co_u64_u32 v[5:6], null, s9, v79, v[5:6]
	s_delay_alu instid0(VALU_DEP_2) | instskip(NEXT) | instid1(VALU_DEP_2)
	v_mad_co_u64_u32 v[6:7], null, 0x1b0, s8, v[0:1]
	v_lshlrev_b64_e32 v[4:5], 3, v[4:5]
	s_delay_alu instid0(VALU_DEP_2) | instskip(NEXT) | instid1(VALU_DEP_2)
	v_mad_co_u64_u32 v[7:8], null, 0x1b0, s9, v[7:8]
	v_add_co_u32 v2, s2, v2, v4
	s_wait_alu 0xf1ff
	s_delay_alu instid0(VALU_DEP_3) | instskip(SKIP_2) | instid1(VALU_DEP_4)
	v_add_co_ci_u32_e64 v3, s2, v3, v5, s2
	v_add_co_u32 v16, s2, v6, s14
	s_wait_alu 0xf1ff
	v_add_co_ci_u32_e64 v17, s2, s15, v7, s2
	s_clause 0x4
	global_load_b64 v[4:5], v[58:59], off offset:168
	global_load_b64 v[8:9], v[58:59], off offset:384
	;; [unrolled: 1-line block ×5, first 2 shown]
	global_load_b64 v[0:1], v[0:1], off
	global_load_b64 v[2:3], v[2:3], off
	v_add_co_u32 v18, s2, v16, s14
	s_wait_alu 0xf1ff
	v_add_co_ci_u32_e64 v19, s2, s15, v17, s2
	global_load_b64 v[6:7], v[6:7], off
	v_add_co_u32 v20, s2, v18, s14
	s_wait_alu 0xf1ff
	v_add_co_ci_u32_e64 v21, s2, s15, v19, s2
	global_load_b64 v[16:17], v[16:17], off
	v_add_co_u32 v22, s2, v20, s14
	global_load_b64 v[18:19], v[18:19], off
	s_wait_alu 0xf1ff
	v_add_co_ci_u32_e64 v23, s2, s15, v21, s2
	global_load_b64 v[20:21], v[20:21], off
	s_clause 0x1
	global_load_b64 v[24:25], v[58:59], off offset:1248
	global_load_b64 v[26:27], v[58:59], off offset:1464
	global_load_b64 v[22:23], v[22:23], off
	s_wait_loadcnt 0x8
	v_mul_f32_e32 v28, v1, v5
	v_mul_f32_e32 v5, v0, v5
	s_delay_alu instid0(VALU_DEP_1) | instskip(SKIP_1) | instid1(VALU_DEP_3)
	v_fma_f32 v29, v1, v4, -v5
	s_wait_loadcnt 0x6
	v_dual_mul_f32 v5, v6, v11 :: v_dual_fmac_f32 v28, v0, v4
	v_mul_f32_e32 v4, v7, v11
	v_mul_f32_e32 v0, v3, v9
	;; [unrolled: 1-line block ×3, first 2 shown]
	s_delay_alu instid0(VALU_DEP_4) | instskip(NEXT) | instid1(VALU_DEP_4)
	v_fma_f32 v5, v7, v10, -v5
	v_fmac_f32_e32 v4, v6, v10
	s_wait_loadcnt 0x4
	v_mul_f32_e32 v6, v19, v15
	v_fma_f32 v1, v3, v8, -v9
	s_wait_loadcnt 0x2
	v_mul_f32_e32 v9, v20, v25
	v_mul_f32_e32 v3, v16, v13
	;; [unrolled: 1-line block ×3, first 2 shown]
	v_fmac_f32_e32 v0, v2, v8
	s_wait_loadcnt 0x0
	v_dual_mul_f32 v2, v17, v13 :: v_dual_mul_f32 v11, v22, v27
	v_mul_f32_e32 v8, v21, v25
	v_mul_f32_e32 v10, v23, v27
	v_fma_f32 v3, v17, v12, -v3
	s_delay_alu instid0(VALU_DEP_4)
	v_fmac_f32_e32 v2, v16, v12
	v_fmac_f32_e32 v6, v18, v14
	v_fma_f32 v7, v19, v14, -v7
	v_fmac_f32_e32 v8, v20, v24
	v_fma_f32 v9, v21, v24, -v9
	;; [unrolled: 2-line block ×3, first 2 shown]
	ds_store_2addr_b64 v80, v[28:29], v[0:1] offset0:21 offset1:48
	ds_store_2addr_b64 v80, v[4:5], v[2:3] offset0:75 offset1:102
	;; [unrolled: 1-line block ×3, first 2 shown]
	ds_store_b64 v80, v[10:11] offset:1464
.LBB0_3:
	s_wait_alu 0xfffe
	s_or_b32 exec_lo, exec_lo, s3
	global_wb scope:SCOPE_SE
	s_wait_dscnt 0x0
	s_wait_kmcnt 0x0
	s_barrier_signal -1
	s_barrier_wait -1
	global_inv scope:SCOPE_SE
	ds_load_2addr_b64 v[12:15], v80 offset1:27
	ds_load_2addr_b64 v[16:19], v80 offset0:54 offset1:81
	ds_load_2addr_b64 v[20:23], v80 offset0:108 offset1:135
	ds_load_b64 v[26:27], v80 offset:1296
	s_load_b64 s[0:1], s[0:1], 0x8
	v_mov_b32_e32 v2, 0
	v_mov_b32_e32 v3, 0
	s_delay_alu instid0(VALU_DEP_2) | instskip(NEXT) | instid1(VALU_DEP_2)
	v_mov_b32_e32 v0, v2
                                        ; implicit-def: $vgpr24
	v_mov_b32_e32 v1, v3
	v_dual_mov_b32 v5, v3 :: v_dual_mov_b32 v4, v2
	v_dual_mov_b32 v9, v3 :: v_dual_mov_b32 v8, v2
	s_and_saveexec_b32 s2, vcc_lo
	s_cbranch_execz .LBB0_5
; %bb.4:
	ds_load_2addr_b64 v[0:3], v80 offset0:21 offset1:48
	ds_load_2addr_b64 v[4:7], v80 offset0:75 offset1:102
	;; [unrolled: 1-line block ×3, first 2 shown]
	ds_load_b64 v[24:25], v80 offset:1464
.LBB0_5:
	s_wait_alu 0xfffe
	s_or_b32 exec_lo, exec_lo, s2
	v_add_co_u32 v28, s2, v81, 21
	s_wait_alu 0xf1ff
	v_add_co_ci_u32_e64 v29, null, 0, 0, s2
	s_wait_dscnt 0x0
	v_dual_add_f32 v29, v14, v26 :: v_dual_add_f32 v30, v15, v27
	v_dual_sub_f32 v14, v14, v26 :: v_dual_sub_f32 v15, v15, v27
	v_dual_add_f32 v26, v16, v22 :: v_dual_add_f32 v27, v17, v23
	v_dual_sub_f32 v16, v16, v22 :: v_dual_sub_f32 v17, v17, v23
	;; [unrolled: 2-line block ×3, first 2 shown]
	s_delay_alu instid0(VALU_DEP_4) | instskip(SKIP_1) | instid1(VALU_DEP_4)
	v_dual_add_f32 v20, v26, v29 :: v_dual_add_f32 v21, v27, v30
	v_dual_sub_f32 v31, v26, v29 :: v_dual_sub_f32 v32, v27, v30
	v_dual_sub_f32 v29, v29, v22 :: v_dual_sub_f32 v30, v30, v23
	;; [unrolled: 1-line block ×3, first 2 shown]
	v_dual_add_f32 v33, v18, v16 :: v_dual_add_f32 v34, v19, v17
	v_dual_sub_f32 v35, v18, v16 :: v_dual_sub_f32 v36, v19, v17
	v_dual_sub_f32 v16, v16, v14 :: v_dual_add_f32 v21, v23, v21
	v_dual_add_f32 v20, v22, v20 :: v_dual_sub_f32 v17, v17, v15
	v_dual_sub_f32 v18, v14, v18 :: v_dual_sub_f32 v19, v15, v19
	v_dual_add_f32 v22, v33, v14 :: v_dual_add_f32 v23, v34, v15
	s_delay_alu instid0(VALU_DEP_3)
	v_dual_add_f32 v14, v12, v20 :: v_dual_add_f32 v15, v13, v21
	v_dual_mul_f32 v12, 0x3f4a47b2, v29 :: v_dual_mul_f32 v13, 0x3f4a47b2, v30
	v_dual_mul_f32 v29, 0x3d64c772, v26 :: v_dual_mul_f32 v30, 0x3d64c772, v27
	;; [unrolled: 1-line block ×4, first 2 shown]
	v_dual_fmamk_f32 v20, v20, 0xbf955555, v14 :: v_dual_fmamk_f32 v21, v21, 0xbf955555, v15
	v_dual_fmamk_f32 v26, v26, 0x3d64c772, v12 :: v_dual_fmamk_f32 v27, v27, 0x3d64c772, v13
	v_fma_f32 v29, 0x3f3bfb3b, v31, -v29
	v_fma_f32 v30, 0x3f3bfb3b, v32, -v30
	;; [unrolled: 1-line block ×4, first 2 shown]
	v_dual_fmamk_f32 v31, v18, 0x3eae86e6, v33 :: v_dual_fmamk_f32 v32, v19, 0x3eae86e6, v34
	v_fma_f32 v33, 0x3f5ff5aa, v16, -v33
	v_fma_f32 v34, 0x3f5ff5aa, v17, -v34
	;; [unrolled: 1-line block ×4, first 2 shown]
	v_dual_add_f32 v37, v26, v20 :: v_dual_add_f32 v38, v27, v21
	v_dual_add_f32 v26, v29, v20 :: v_dual_add_f32 v27, v30, v21
	;; [unrolled: 1-line block ×3, first 2 shown]
	s_delay_alu instid0(VALU_DEP_4) | instskip(SKIP_2) | instid1(VALU_DEP_2)
	v_dual_fmac_f32 v33, 0x3ee1c552, v22 :: v_dual_fmac_f32 v36, 0x3ee1c552, v23
	v_dual_fmac_f32 v35, 0x3ee1c552, v22 :: v_dual_fmac_f32 v34, 0x3ee1c552, v23
	;; [unrolled: 1-line block ×3, first 2 shown]
	v_dual_add_f32 v18, v36, v12 :: v_dual_sub_f32 v19, v13, v35
	s_delay_alu instid0(VALU_DEP_3)
	v_dual_sub_f32 v20, v26, v34 :: v_dual_add_f32 v21, v33, v27
	v_dual_add_f32 v22, v34, v26 :: v_dual_sub_f32 v23, v27, v33
	v_dual_sub_f32 v26, v12, v36 :: v_dual_add_f32 v27, v35, v13
	v_dual_add_f32 v12, v24, v2 :: v_dual_add_f32 v13, v25, v3
	v_dual_sub_f32 v2, v2, v24 :: v_dual_sub_f32 v3, v3, v25
	v_dual_add_f32 v24, v10, v4 :: v_dual_add_f32 v25, v11, v5
	v_dual_sub_f32 v4, v4, v10 :: v_dual_sub_f32 v5, v5, v11
	;; [unrolled: 2-line block ×3, first 2 shown]
	s_delay_alu instid0(VALU_DEP_4)
	v_dual_add_f32 v8, v12, v24 :: v_dual_add_f32 v9, v13, v25
	v_dual_add_f32 v16, v37, v32 :: v_dual_sub_f32 v17, v38, v31
	v_dual_sub_f32 v29, v37, v32 :: v_dual_add_f32 v30, v31, v38
	v_dual_sub_f32 v31, v24, v12 :: v_dual_sub_f32 v32, v25, v13
	v_dual_sub_f32 v12, v12, v10 :: v_dual_sub_f32 v13, v13, v11
	;; [unrolled: 1-line block ×3, first 2 shown]
	v_dual_add_f32 v33, v4, v6 :: v_dual_add_f32 v34, v5, v7
	v_dual_sub_f32 v35, v6, v4 :: v_dual_sub_f32 v36, v7, v5
	v_dual_sub_f32 v4, v4, v2 :: v_dual_add_f32 v11, v9, v11
	v_dual_add_f32 v10, v8, v10 :: v_dual_sub_f32 v5, v5, v3
	v_dual_sub_f32 v6, v2, v6 :: v_dual_sub_f32 v7, v3, v7
	v_dual_add_f32 v2, v2, v33 :: v_dual_add_f32 v3, v3, v34
	s_delay_alu instid0(VALU_DEP_3)
	v_dual_add_f32 v8, v10, v0 :: v_dual_add_f32 v9, v11, v1
	v_dual_mul_f32 v0, 0x3f4a47b2, v12 :: v_dual_mul_f32 v1, 0x3f4a47b2, v13
	v_dual_mul_f32 v24, 0x3d64c772, v24 :: v_dual_mul_f32 v25, 0x3d64c772, v25
	;; [unrolled: 1-line block ×4, first 2 shown]
	v_dual_fmamk_f32 v37, v10, 0xbf955555, v8 :: v_dual_fmamk_f32 v38, v11, 0xbf955555, v9
	s_delay_alu instid0(VALU_DEP_4)
	v_dual_fmamk_f32 v12, v12, 0x3f4a47b2, v24 :: v_dual_fmamk_f32 v13, v13, 0x3f4a47b2, v25
	v_fma_f32 v24, 0x3f3bfb3b, v31, -v24
	v_fma_f32 v25, 0x3f3bfb3b, v32, -v25
	;; [unrolled: 1-line block ×4, first 2 shown]
	v_dual_fmamk_f32 v10, v6, 0x3eae86e6, v33 :: v_dual_fmamk_f32 v11, v7, 0x3eae86e6, v34
	v_fma_f32 v32, 0xbeae86e6, v6, -v35
	v_fma_f32 v6, 0xbeae86e6, v7, -v36
	;; [unrolled: 1-line block ×4, first 2 shown]
	v_dual_add_f32 v5, v24, v37 :: v_dual_fmac_f32 v10, 0x3ee1c552, v2
	v_dual_add_f32 v7, v25, v38 :: v_dual_add_f32 v24, v0, v37
	v_dual_add_f32 v25, v1, v38 :: v_dual_fmac_f32 v6, 0x3ee1c552, v3
	v_mul_lo_u16 v33, v81, 7
	v_dual_add_f32 v12, v12, v37 :: v_dual_add_f32 v13, v13, v38
	v_dual_fmac_f32 v32, 0x3ee1c552, v2 :: v_dual_fmac_f32 v11, 0x3ee1c552, v3
	v_dual_fmac_f32 v4, 0x3ee1c552, v3 :: v_dual_fmac_f32 v31, 0x3ee1c552, v2
	s_delay_alu instid0(VALU_DEP_2) | instskip(SKIP_1) | instid1(VALU_DEP_4)
	v_dual_add_f32 v0, v24, v6 :: v_dual_sub_f32 v1, v25, v32
	v_sub_f32_e32 v6, v24, v6
	v_dual_sub_f32 v75, v12, v11 :: v_dual_and_b32 v24, 0xffff, v33
	s_delay_alu instid0(VALU_DEP_4)
	v_dual_sub_f32 v2, v5, v4 :: v_dual_add_f32 v3, v31, v7
	v_dual_add_f32 v4, v5, v4 :: v_dual_sub_f32 v5, v7, v31
	v_add_f32_e32 v7, v32, v25
	v_add_f32_e32 v76, v10, v13
	v_lshl_add_u32 v85, v24, 3, v82
	v_mul_u32_u24_e32 v84, 7, v28
	global_wb scope:SCOPE_SE
	s_wait_kmcnt 0x0
	s_barrier_signal -1
	s_barrier_wait -1
	global_inv scope:SCOPE_SE
	ds_store_2addr_b64 v85, v[14:15], v[16:17] offset1:1
	ds_store_2addr_b64 v85, v[18:19], v[20:21] offset0:2 offset1:3
	ds_store_2addr_b64 v85, v[22:23], v[26:27] offset0:4 offset1:5
	ds_store_b64 v85, v[29:30] offset:48
	s_and_saveexec_b32 s2, vcc_lo
	s_cbranch_execz .LBB0_7
; %bb.6:
	v_dual_sub_f32 v13, v13, v10 :: v_dual_add_f32 v12, v12, v11
	v_lshl_add_u32 v10, v84, 3, v82
	ds_store_2addr_b64 v10, v[8:9], v[12:13] offset1:1
	ds_store_2addr_b64 v10, v[0:1], v[2:3] offset0:2 offset1:3
	ds_store_2addr_b64 v10, v[4:5], v[6:7] offset0:4 offset1:5
	ds_store_b64 v10, v[75:76] offset:48
.LBB0_7:
	s_wait_alu 0xfffe
	s_or_b32 exec_lo, exec_lo, s2
	v_and_b32_e32 v8, 0xff, v81
	v_and_b32_e32 v9, 0xff, v28
	v_add_co_u32 v29, null, v81, 42
	global_wb scope:SCOPE_SE
	s_wait_dscnt 0x0
	v_mul_lo_u16 v8, v8, 37
	v_mul_lo_u16 v9, v9, 37
	v_and_b32_e32 v20, 0xff, v29
	s_barrier_signal -1
	s_barrier_wait -1
	v_lshrrev_b16 v8, 8, v8
	v_lshrrev_b16 v9, 8, v9
	v_mul_lo_u16 v10, v20, 37
	global_inv scope:SCOPE_SE
	v_mul_lo_u16 v20, 0x87, v20
	v_sub_nc_u16 v11, v81, v8
	v_sub_nc_u16 v12, v28, v9
	v_lshrrev_b16 v10, 8, v10
	s_delay_alu instid0(VALU_DEP_4) | instskip(NEXT) | instid1(VALU_DEP_4)
	v_lshrrev_b16 v20, 8, v20
	v_lshrrev_b16 v11, 1, v11
	s_delay_alu instid0(VALU_DEP_4) | instskip(NEXT) | instid1(VALU_DEP_4)
	v_lshrrev_b16 v12, 1, v12
	v_sub_nc_u16 v13, v29, v10
	s_delay_alu instid0(VALU_DEP_4) | instskip(NEXT) | instid1(VALU_DEP_4)
	v_sub_nc_u16 v21, v29, v20
	v_and_b32_e32 v11, 0x7f, v11
	s_delay_alu instid0(VALU_DEP_4) | instskip(NEXT) | instid1(VALU_DEP_4)
	v_and_b32_e32 v12, 0x7f, v12
	v_lshrrev_b16 v13, 1, v13
	s_delay_alu instid0(VALU_DEP_4) | instskip(NEXT) | instid1(VALU_DEP_4)
	v_lshrrev_b16 v21, 1, v21
	v_add_nc_u16 v8, v11, v8
	s_delay_alu instid0(VALU_DEP_4) | instskip(NEXT) | instid1(VALU_DEP_4)
	v_add_nc_u16 v9, v12, v9
	v_and_b32_e32 v11, 0x7f, v13
	s_delay_alu instid0(VALU_DEP_3) | instskip(NEXT) | instid1(VALU_DEP_3)
	v_lshrrev_b16 v38, 2, v8
	v_lshrrev_b16 v30, 2, v9
	s_delay_alu instid0(VALU_DEP_3) | instskip(NEXT) | instid1(VALU_DEP_3)
	v_add_nc_u16 v8, v11, v10
	v_mul_lo_u16 v9, v38, 7
	s_delay_alu instid0(VALU_DEP_3) | instskip(NEXT) | instid1(VALU_DEP_3)
	v_mul_lo_u16 v10, v30, 7
	v_lshrrev_b16 v39, 2, v8
	s_delay_alu instid0(VALU_DEP_3) | instskip(NEXT) | instid1(VALU_DEP_3)
	v_sub_nc_u16 v40, v81, v9
	v_sub_nc_u16 v8, v28, v10
	s_delay_alu instid0(VALU_DEP_3) | instskip(SKIP_1) | instid1(VALU_DEP_4)
	v_mul_lo_u16 v9, v39, 7
	v_lshlrev_b32_e32 v28, 4, v28
	v_lshlrev_b16 v10, 1, v40
	s_delay_alu instid0(VALU_DEP_4) | instskip(NEXT) | instid1(VALU_DEP_4)
	v_and_b32_e32 v41, 0xff, v8
	v_sub_nc_u16 v8, v29, v9
	v_mad_u16 v40, v38, 21, v40
	s_delay_alu instid0(VALU_DEP_4) | instskip(NEXT) | instid1(VALU_DEP_4)
	v_and_b32_e32 v9, 0xfe, v10
	v_lshlrev_b32_e32 v10, 4, v41
	s_delay_alu instid0(VALU_DEP_4)
	v_and_b32_e32 v42, 0xff, v8
	global_load_b128 v[12:15], v10, s[0:1]
	v_lshlrev_b32_e32 v8, 3, v9
	v_lshlrev_b32_e32 v9, 4, v42
	s_clause 0x1
	global_load_b128 v[16:19], v8, s[0:1]
	global_load_b128 v[8:11], v9, s[0:1]
	v_and_b32_e32 v21, 0x7f, v21
	s_delay_alu instid0(VALU_DEP_1) | instskip(NEXT) | instid1(VALU_DEP_1)
	v_add_nc_u16 v20, v21, v20
	v_lshrrev_b16 v34, 4, v20
	ds_load_2addr_b64 v[20:23], v80 offset1:21
	ds_load_2addr_b64 v[24:27], v80 offset0:42 offset1:63
	v_and_b32_e32 v40, 0xff, v40
	v_and_b32_e32 v45, 15, v34
	ds_load_2addr_b64 v[34:37], v80 offset0:84 offset1:105
	v_and_b32_e32 v43, 0xffff, v30
	ds_load_2addr_b64 v[30:33], v80 offset0:126 offset1:147
	v_and_b32_e32 v46, 0xffff, v39
	ds_load_b64 v[38:39], v80 offset:1344
	v_lshl_add_u32 v88, v40, 3, v82
	global_wb scope:SCOPE_SE
	s_wait_loadcnt_dscnt 0x0
	s_barrier_signal -1
	s_barrier_wait -1
	global_inv scope:SCOPE_SE
	v_dual_mul_f32 v48, v31, v19 :: v_dual_mul_f32 v51, v37, v9
	v_mul_f32_e32 v52, v36, v9
	v_mul_u32_u24_e32 v43, 21, v43
	v_mul_f32_e32 v47, v26, v17
	v_mul_f32_e32 v50, v30, v19
	;; [unrolled: 1-line block ×3, first 2 shown]
	s_delay_alu instid0(VALU_DEP_4)
	v_dual_mul_f32 v54, v38, v11 :: v_dual_add_nc_u32 v41, v43, v41
	v_mul_u32_u24_e32 v43, 21, v46
	v_mul_f32_e32 v46, v27, v17
	v_fma_f32 v30, v30, v18, -v48
	v_fmac_f32_e32 v50, v31, v18
	v_lshl_add_u32 v87, v41, 3, v82
	v_dual_mul_f32 v41, v34, v13 :: v_dual_add_nc_u32 v40, v43, v42
	v_mul_f32_e32 v42, v33, v15
	v_mul_f32_e32 v43, v32, v15
	v_fma_f32 v26, v26, v16, -v46
	s_delay_alu instid0(VALU_DEP_4)
	v_lshl_add_u32 v86, v40, 3, v82
	v_mul_f32_e32 v40, v35, v13
	v_fmac_f32_e32 v41, v35, v12
	v_fma_f32 v32, v32, v14, -v42
	v_fmac_f32_e32 v43, v33, v14
	v_fmac_f32_e32 v47, v27, v16
	v_fma_f32 v34, v34, v12, -v40
	v_fmac_f32_e32 v52, v37, v8
	v_mul_lo_u16 v45, v45, 21
	v_dual_fmac_f32 v54, v39, v10 :: v_dual_lshlrev_b32 v49, 4, v81
	v_fma_f32 v27, v36, v8, -v51
	v_fma_f32 v33, v38, v10, -v53
	s_delay_alu instid0(VALU_DEP_4)
	v_sub_nc_u16 v45, v29, v45
	v_add_f32_e32 v35, v34, v32
	v_dual_add_f32 v37, v23, v41 :: v_dual_add_f32 v40, v26, v30
	v_add_f32_e32 v38, v41, v43
	v_dual_add_f32 v46, v47, v50 :: v_dual_add_f32 v55, v25, v52
	v_add_f32_e32 v31, v22, v34
	v_add_f32_e32 v51, v27, v33
	v_sub_f32_e32 v53, v52, v54
	v_dual_add_f32 v52, v52, v54 :: v_dual_and_b32 v45, 0xff, v45
	v_dual_sub_f32 v36, v41, v43 :: v_dual_sub_f32 v39, v34, v32
	v_add_f32_e32 v42, v21, v47
	v_add_f32_e32 v34, v20, v26
	v_dual_sub_f32 v41, v47, v50 :: v_dual_add_f32 v48, v24, v27
	v_dual_sub_f32 v47, v26, v30 :: v_dual_sub_f32 v56, v27, v33
	v_fma_f32 v22, -0.5, v35, v22
	v_fma_f32 v20, -0.5, v40, v20
	;; [unrolled: 1-line block ×3, first 2 shown]
	v_fmac_f32_e32 v23, -0.5, v38
	v_fma_f32 v24, -0.5, v51, v24
	v_fmac_f32_e32 v25, -0.5, v52
	v_dual_add_f32 v26, v31, v32 :: v_dual_add_f32 v27, v37, v43
	v_add_f32_e32 v30, v34, v30
	v_dual_add_f32 v31, v42, v50 :: v_dual_fmamk_f32 v34, v36, 0x3f5db3d7, v22
	v_dual_add_f32 v32, v48, v33 :: v_dual_add_f32 v33, v55, v54
	v_fmac_f32_e32 v22, 0xbf5db3d7, v36
	v_fmamk_f32 v36, v41, 0x3f5db3d7, v20
	v_fmamk_f32 v37, v47, 0xbf5db3d7, v21
	v_dual_fmamk_f32 v35, v39, 0xbf5db3d7, v23 :: v_dual_fmac_f32 v20, 0xbf5db3d7, v41
	v_fmac_f32_e32 v21, 0x3f5db3d7, v47
	v_dual_fmac_f32 v23, 0x3f5db3d7, v39 :: v_dual_fmamk_f32 v38, v53, 0x3f5db3d7, v24
	v_dual_fmamk_f32 v39, v56, 0xbf5db3d7, v25 :: v_dual_fmac_f32 v24, 0xbf5db3d7, v53
	v_fmac_f32_e32 v25, 0x3f5db3d7, v56
	ds_store_2addr_b64 v88, v[30:31], v[36:37] offset1:7
	ds_store_b64 v88, v[20:21] offset:112
	ds_store_2addr_b64 v87, v[26:27], v[34:35] offset1:7
	ds_store_b64 v87, v[22:23] offset:112
	;; [unrolled: 2-line block ×3, first 2 shown]
	v_lshlrev_b32_e32 v20, 4, v45
	global_wb scope:SCOPE_SE
	s_wait_dscnt 0x0
	s_barrier_signal -1
	s_barrier_wait -1
	global_inv scope:SCOPE_SE
	s_clause 0x1
	global_load_b128 v[24:27], v49, s[0:1] offset:112
	global_load_b128 v[20:23], v20, s[0:1] offset:112
	ds_load_2addr_b64 v[30:33], v80 offset0:42 offset1:63
	ds_load_2addr_b64 v[34:37], v80 offset0:126 offset1:147
	;; [unrolled: 1-line block ×3, first 2 shown]
	ds_load_b64 v[42:43], v80 offset:1344
	v_lshl_add_u32 v89, v45, 3, v82
	ds_load_2addr_b64 v[45:48], v80 offset1:21
	global_wb scope:SCOPE_SE
	s_wait_loadcnt_dscnt 0x0
	s_barrier_signal -1
	s_barrier_wait -1
	global_inv scope:SCOPE_SE
	v_dual_mul_f32 v50, v33, v25 :: v_dual_mul_f32 v53, v34, v27
	v_dual_mul_f32 v51, v32, v25 :: v_dual_mul_f32 v56, v37, v27
	v_mul_f32_e32 v52, v35, v27
	v_dual_mul_f32 v54, v39, v25 :: v_dual_mul_f32 v57, v36, v27
	v_dual_mul_f32 v77, v41, v21 :: v_dual_mul_f32 v90, v42, v23
	;; [unrolled: 1-line block ×3, first 2 shown]
	v_mul_f32_e32 v55, v38, v25
	v_fma_f32 v32, v32, v24, -v50
	s_delay_alu instid0(VALU_DEP_4)
	v_dual_fmac_f32 v51, v33, v24 :: v_dual_fmac_f32 v90, v43, v22
	v_fma_f32 v33, v34, v26, -v52
	v_fma_f32 v34, v38, v24, -v54
	v_fmac_f32_e32 v53, v35, v26
	v_fma_f32 v36, v36, v26, -v56
	v_fma_f32 v35, v40, v20, -v77
	v_dual_add_f32 v40, v46, v51 :: v_dual_fmac_f32 v57, v37, v26
	v_fmac_f32_e32 v78, v41, v20
	v_fmac_f32_e32 v55, v39, v24
	v_fma_f32 v38, v42, v22, -v83
	v_dual_add_f32 v37, v45, v32 :: v_dual_add_f32 v50, v47, v34
	v_dual_add_f32 v39, v32, v33 :: v_dual_sub_f32 v56, v34, v36
	v_add_f32_e32 v42, v51, v53
	v_dual_sub_f32 v43, v32, v33 :: v_dual_add_f32 v92, v31, v78
	v_sub_f32_e32 v91, v78, v90
	v_dual_add_f32 v78, v78, v90 :: v_dual_sub_f32 v41, v51, v53
	v_dual_add_f32 v54, v48, v55 :: v_dual_add_f32 v51, v34, v36
	v_sub_f32_e32 v52, v55, v57
	v_dual_add_f32 v55, v55, v57 :: v_dual_add_f32 v36, v50, v36
	v_add_f32_e32 v83, v35, v38
	v_fma_f32 v34, -0.5, v39, v45
	v_dual_add_f32 v77, v30, v35 :: v_dual_add_f32 v32, v37, v33
	v_sub_f32_e32 v93, v35, v38
	v_fma_f32 v35, -0.5, v42, v46
	v_fma_f32 v47, -0.5, v51, v47
	v_fmac_f32_e32 v48, -0.5, v55
	v_fma_f32 v30, -0.5, v83, v30
	v_dual_add_f32 v33, v40, v53 :: v_dual_add_f32 v38, v77, v38
	v_dual_fmamk_f32 v40, v41, 0x3f5db3d7, v34 :: v_dual_fmac_f32 v31, -0.5, v78
	v_dual_fmac_f32 v34, 0xbf5db3d7, v41 :: v_dual_fmamk_f32 v41, v43, 0xbf5db3d7, v35
	v_dual_add_f32 v37, v54, v57 :: v_dual_fmamk_f32 v42, v52, 0x3f5db3d7, v47
	v_fmac_f32_e32 v35, 0x3f5db3d7, v43
	v_add_f32_e32 v39, v92, v90
	v_fmac_f32_e32 v47, 0xbf5db3d7, v52
	v_fmamk_f32 v45, v91, 0x3f5db3d7, v30
	v_fmac_f32_e32 v30, 0xbf5db3d7, v91
	v_dual_fmamk_f32 v43, v56, 0xbf5db3d7, v48 :: v_dual_fmamk_f32 v46, v93, 0xbf5db3d7, v31
	v_dual_fmac_f32 v48, 0x3f5db3d7, v56 :: v_dual_fmac_f32 v31, 0x3f5db3d7, v93
	ds_store_2addr_b64 v80, v[32:33], v[40:41] offset1:21
	ds_store_2addr_b64 v80, v[34:35], v[36:37] offset0:42 offset1:63
	ds_store_2addr_b64 v80, v[42:43], v[47:48] offset0:84 offset1:105
	;; [unrolled: 1-line block ×3, first 2 shown]
	ds_store_b64 v89, v[30:31] offset:1344
	global_wb scope:SCOPE_SE
	s_wait_dscnt 0x0
	s_barrier_signal -1
	s_barrier_wait -1
	global_inv scope:SCOPE_SE
	global_load_b128 v[36:39], v49, s[0:1] offset:448
	v_lshlrev_b32_e32 v29, 4, v29
	s_clause 0x1
	global_load_b128 v[32:35], v28, s[0:1] offset:448
	global_load_b128 v[28:31], v29, s[0:1] offset:448
	ds_load_2addr_b64 v[40:43], v80 offset0:42 offset1:63
	ds_load_2addr_b64 v[45:48], v80 offset0:126 offset1:147
	;; [unrolled: 1-line block ×3, first 2 shown]
	ds_load_b64 v[77:78], v80 offset:1344
	ds_load_2addr_b64 v[53:56], v80 offset1:21
	v_lshl_add_u32 v83, v81, 3, v82
	s_add_nc_u64 s[0:1], s[12:13], 0x5e8
	s_wait_loadcnt_dscnt 0x204
	v_mul_f32_e32 v90, v42, v37
	s_wait_dscnt 0x3
	v_mul_f32_e32 v91, v46, v39
	v_dual_mul_f32 v92, v45, v39 :: v_dual_mul_f32 v57, v43, v37
	s_wait_loadcnt_dscnt 0x102
	v_dual_mul_f32 v94, v49, v33 :: v_dual_mul_f32 v95, v48, v35
	v_dual_mul_f32 v96, v47, v35 :: v_dual_mul_f32 v93, v50, v33
	s_wait_loadcnt_dscnt 0x1
	v_dual_mul_f32 v98, v51, v29 :: v_dual_mul_f32 v99, v78, v31
	v_dual_mul_f32 v100, v77, v31 :: v_dual_mul_f32 v97, v52, v29
	v_fmac_f32_e32 v90, v43, v36
	v_fma_f32 v43, v45, v38, -v91
	v_fmac_f32_e32 v92, v46, v38
	s_delay_alu instid0(VALU_DEP_4)
	v_fmac_f32_e32 v100, v78, v30
	v_fma_f32 v42, v42, v36, -v57
	v_fmac_f32_e32 v94, v50, v32
	v_fmac_f32_e32 v96, v48, v34
	v_fma_f32 v45, v49, v32, -v93
	v_fma_f32 v49, v47, v34, -v95
	;; [unrolled: 1-line block ×3, first 2 shown]
	v_fmac_f32_e32 v98, v52, v28
	v_fma_f32 v51, v77, v30, -v99
	s_wait_dscnt 0x0
	v_dual_add_f32 v47, v53, v42 :: v_dual_add_f32 v48, v42, v43
	v_dual_add_f32 v52, v90, v92 :: v_dual_add_f32 v91, v56, v94
	v_dual_sub_f32 v57, v90, v92 :: v_dual_add_f32 v78, v45, v49
	v_add_f32_e32 v93, v94, v96
	v_dual_add_f32 v50, v54, v90 :: v_dual_add_f32 v77, v55, v45
	v_dual_sub_f32 v90, v94, v96 :: v_dual_add_f32 v101, v41, v98
	v_dual_sub_f32 v94, v45, v49 :: v_dual_add_f32 v97, v46, v51
	s_delay_alu instid0(VALU_DEP_4)
	v_dual_sub_f32 v99, v98, v100 :: v_dual_fmac_f32 v56, -0.5, v93
	v_dual_add_f32 v98, v98, v100 :: v_dual_add_f32 v45, v47, v43
	v_dual_sub_f32 v42, v42, v43 :: v_dual_add_f32 v95, v40, v46
	v_fma_f32 v47, -0.5, v48, v53
	v_fma_f32 v48, -0.5, v52, v54
	;; [unrolled: 1-line block ×3, first 2 shown]
	v_dual_sub_f32 v102, v46, v51 :: v_dual_add_f32 v49, v77, v49
	v_dual_add_f32 v46, v50, v92 :: v_dual_add_f32 v51, v95, v51
	v_add_f32_e32 v50, v91, v96
	v_fma_f32 v40, -0.5, v97, v40
	v_dual_add_f32 v52, v101, v100 :: v_dual_fmac_f32 v41, -0.5, v98
	v_fmamk_f32 v53, v57, 0x3f5db3d7, v47
	v_dual_fmac_f32 v47, 0xbf5db3d7, v57 :: v_dual_fmamk_f32 v54, v42, 0xbf5db3d7, v48
	v_dual_fmac_f32 v48, 0x3f5db3d7, v42 :: v_dual_fmamk_f32 v77, v90, 0x3f5db3d7, v55
	;; [unrolled: 1-line block ×3, first 2 shown]
	v_fmac_f32_e32 v56, 0x3f5db3d7, v94
	v_fmamk_f32 v42, v99, 0x3f5db3d7, v40
	v_dual_fmac_f32 v40, 0xbf5db3d7, v99 :: v_dual_fmamk_f32 v43, v102, 0xbf5db3d7, v41
	v_fmac_f32_e32 v41, 0x3f5db3d7, v102
	ds_store_b64 v83, v[49:50] offset:168
	ds_store_2addr_b64 v83, v[53:54], v[47:48] offset0:63 offset1:126
	ds_store_b64 v80, v[45:46]
	ds_store_b64 v80, v[77:78] offset:672
	ds_store_b64 v80, v[55:56] offset:1176
	ds_store_b64 v83, v[51:52] offset:336
	ds_store_b64 v80, v[42:43] offset:840
	ds_store_b64 v80, v[40:41] offset:1344
	global_wb scope:SCOPE_SE
	s_wait_dscnt 0x0
	s_barrier_signal -1
	s_barrier_wait -1
	global_inv scope:SCOPE_SE
	s_clause 0x6
	global_load_b64 v[77:78], v[58:59], off offset:1512
	global_load_b64 v[90:91], v44, s[0:1] offset:216
	global_load_b64 v[92:93], v44, s[0:1] offset:432
	;; [unrolled: 1-line block ×6, first 2 shown]
	ds_load_2addr_b64 v[45:48], v80 offset1:27
	ds_load_2addr_b64 v[49:52], v80 offset0:54 offset1:81
	ds_load_2addr_b64 v[53:56], v80 offset0:108 offset1:135
	ds_load_b64 v[102:103], v80 offset:1296
	s_wait_loadcnt_dscnt 0x603
	v_mul_f32_e32 v104, v46, v78
	s_wait_loadcnt 0x5
	v_dual_mul_f32 v105, v45, v78 :: v_dual_mul_f32 v106, v48, v91
	s_wait_loadcnt_dscnt 0x402
	v_dual_mul_f32 v78, v47, v91 :: v_dual_mul_f32 v107, v50, v93
	s_wait_loadcnt 0x3
	v_dual_mul_f32 v91, v49, v93 :: v_dual_mul_f32 v108, v52, v95
	s_wait_loadcnt_dscnt 0x201
	v_mul_f32_e32 v109, v54, v97
	v_dual_mul_f32 v93, v51, v95 :: v_dual_fmac_f32 v78, v48, v90
	s_wait_loadcnt 0x1
	v_dual_mul_f32 v95, v53, v97 :: v_dual_mul_f32 v110, v56, v99
	v_mul_f32_e32 v97, v55, v99
	s_wait_loadcnt_dscnt 0x0
	v_mul_f32_e32 v99, v103, v101
	v_mul_f32_e32 v57, v102, v101
	v_fma_f32 v104, v45, v77, -v104
	v_fmac_f32_e32 v105, v46, v77
	v_fma_f32 v77, v47, v90, -v106
	v_fma_f32 v90, v49, v92, -v107
	v_fmac_f32_e32 v91, v50, v92
	v_fma_f32 v92, v51, v94, -v108
	v_fmac_f32_e32 v93, v52, v94
	;; [unrolled: 2-line block ×5, first 2 shown]
	ds_store_2addr_b64 v80, v[104:105], v[77:78] offset1:27
	ds_store_2addr_b64 v80, v[90:91], v[92:93] offset0:54 offset1:81
	ds_store_2addr_b64 v80, v[94:95], v[96:97] offset0:108 offset1:135
	ds_store_b64 v80, v[56:57] offset:1296
	s_and_saveexec_b32 s2, vcc_lo
	s_cbranch_execz .LBB0_9
; %bb.8:
	s_wait_alu 0xfffe
	v_add_co_u32 v44, s0, s0, v44
	s_wait_alu 0xf1ff
	v_add_co_ci_u32_e64 v45, null, s1, 0, s0
	s_clause 0x6
	global_load_b64 v[56:57], v[44:45], off offset:168
	global_load_b64 v[77:78], v[44:45], off offset:384
	;; [unrolled: 1-line block ×7, first 2 shown]
	ds_load_2addr_b64 v[44:47], v83 offset0:21 offset1:48
	ds_load_2addr_b64 v[48:51], v83 offset0:75 offset1:102
	;; [unrolled: 1-line block ×3, first 2 shown]
	ds_load_b64 v[100:101], v83 offset:1464
	s_wait_loadcnt_dscnt 0x603
	v_mul_f32_e32 v102, v45, v57
	s_wait_loadcnt 0x5
	v_dual_mul_f32 v103, v44, v57 :: v_dual_mul_f32 v104, v47, v78
	v_mul_f32_e32 v57, v46, v78
	s_wait_loadcnt_dscnt 0x302
	v_dual_mul_f32 v105, v49, v91 :: v_dual_mul_f32 v106, v51, v93
	v_dual_mul_f32 v78, v48, v91 :: v_dual_mul_f32 v91, v50, v93
	s_wait_loadcnt_dscnt 0x101
	v_dual_mul_f32 v107, v53, v95 :: v_dual_mul_f32 v108, v55, v97
	s_delay_alu instid0(VALU_DEP_2)
	v_dual_mul_f32 v93, v52, v95 :: v_dual_fmac_f32 v78, v49, v90
	v_mul_f32_e32 v95, v54, v97
	s_wait_loadcnt_dscnt 0x0
	v_mul_f32_e32 v109, v101, v99
	v_mul_f32_e32 v97, v100, v99
	v_fma_f32 v102, v44, v56, -v102
	v_fmac_f32_e32 v103, v45, v56
	v_fma_f32 v56, v46, v77, -v104
	v_fmac_f32_e32 v57, v47, v77
	v_fma_f32 v77, v48, v90, -v105
	v_fma_f32 v90, v50, v92, -v106
	v_fmac_f32_e32 v91, v51, v92
	v_fma_f32 v92, v52, v94, -v107
	v_fmac_f32_e32 v93, v53, v94
	;; [unrolled: 2-line block ×4, first 2 shown]
	ds_store_2addr_b64 v83, v[102:103], v[56:57] offset0:21 offset1:48
	ds_store_2addr_b64 v83, v[77:78], v[90:91] offset0:75 offset1:102
	ds_store_2addr_b64 v83, v[92:93], v[94:95] offset0:129 offset1:156
	ds_store_b64 v83, v[96:97] offset:1464
.LBB0_9:
	s_wait_alu 0xfffe
	s_or_b32 exec_lo, exec_lo, s2
	global_wb scope:SCOPE_SE
	s_wait_dscnt 0x0
	s_barrier_signal -1
	s_barrier_wait -1
	global_inv scope:SCOPE_SE
	ds_load_2addr_b64 v[46:49], v80 offset1:27
	ds_load_2addr_b64 v[50:53], v80 offset0:54 offset1:81
	ds_load_2addr_b64 v[54:57], v80 offset0:108 offset1:135
	ds_load_b64 v[77:78], v80 offset:1296
	s_and_saveexec_b32 s0, vcc_lo
	s_cbranch_execz .LBB0_11
; %bb.10:
	ds_load_2addr_b64 v[42:45], v83 offset0:21 offset1:48
	ds_load_2addr_b64 v[0:3], v83 offset0:75 offset1:102
	;; [unrolled: 1-line block ×3, first 2 shown]
	ds_load_b64 v[75:76], v83 offset:1464
	s_wait_dscnt 0x3
	v_dual_mov_b32 v40, v44 :: v_dual_mov_b32 v41, v45
.LBB0_11:
	s_wait_alu 0xfffe
	s_or_b32 exec_lo, exec_lo, s0
	s_wait_dscnt 0x0
	v_dual_add_f32 v90, v48, v77 :: v_dual_add_nc_u32 v45, 0xa8, v80
	v_dual_add_f32 v91, v49, v78 :: v_dual_add_nc_u32 v44, 0x150, v80
	v_dual_sub_f32 v48, v48, v77 :: v_dual_sub_f32 v49, v49, v78
	v_dual_add_f32 v77, v50, v56 :: v_dual_add_f32 v78, v51, v57
	v_dual_sub_f32 v50, v50, v56 :: v_dual_sub_f32 v51, v51, v57
	v_dual_add_f32 v56, v52, v54 :: v_dual_add_f32 v57, v53, v55
	v_dual_sub_f32 v52, v54, v52 :: v_dual_sub_f32 v53, v55, v53
	s_delay_alu instid0(VALU_DEP_4) | instskip(SKIP_1) | instid1(VALU_DEP_4)
	v_dual_add_f32 v54, v77, v90 :: v_dual_add_f32 v55, v78, v91
	v_dual_sub_f32 v92, v77, v90 :: v_dual_sub_f32 v93, v78, v91
	v_dual_sub_f32 v90, v90, v56 :: v_dual_sub_f32 v91, v91, v57
	v_dual_sub_f32 v77, v56, v77 :: v_dual_sub_f32 v78, v57, v78
	v_dual_add_f32 v94, v52, v50 :: v_dual_add_f32 v95, v53, v51
	v_dual_sub_f32 v96, v52, v50 :: v_dual_sub_f32 v97, v53, v51
	v_dual_sub_f32 v50, v50, v48 :: v_dual_add_f32 v55, v57, v55
	v_dual_add_f32 v54, v56, v54 :: v_dual_sub_f32 v51, v51, v49
	v_dual_sub_f32 v52, v48, v52 :: v_dual_sub_f32 v53, v49, v53
	v_dual_add_f32 v48, v94, v48 :: v_dual_add_f32 v49, v95, v49
	s_delay_alu instid0(VALU_DEP_3)
	v_dual_add_f32 v46, v46, v54 :: v_dual_add_f32 v47, v47, v55
	v_dual_mul_f32 v56, 0x3f4a47b2, v90 :: v_dual_mul_f32 v57, 0x3f4a47b2, v91
	v_dual_mul_f32 v90, 0x3d64c772, v77 :: v_dual_mul_f32 v91, 0x3d64c772, v78
	;; [unrolled: 1-line block ×4, first 2 shown]
	v_dual_fmamk_f32 v54, v54, 0xbf955555, v46 :: v_dual_fmamk_f32 v55, v55, 0xbf955555, v47
	v_dual_fmamk_f32 v77, v77, 0x3d64c772, v56 :: v_dual_fmamk_f32 v78, v78, 0x3d64c772, v57
	v_fma_f32 v90, 0x3f3bfb3b, v92, -v90
	v_fma_f32 v91, 0x3f3bfb3b, v93, -v91
	;; [unrolled: 1-line block ×4, first 2 shown]
	v_dual_fmamk_f32 v92, v52, 0xbeae86e6, v94 :: v_dual_fmamk_f32 v93, v53, 0xbeae86e6, v95
	v_fma_f32 v94, 0xbf5ff5aa, v50, -v94
	v_fma_f32 v95, 0xbf5ff5aa, v51, -v95
	;; [unrolled: 1-line block ×4, first 2 shown]
	v_dual_add_f32 v77, v77, v54 :: v_dual_add_f32 v78, v78, v55
	v_dual_fmac_f32 v92, 0xbee1c552, v48 :: v_dual_fmac_f32 v93, 0xbee1c552, v49
	v_dual_add_f32 v90, v90, v54 :: v_dual_add_f32 v91, v91, v55
	v_dual_add_f32 v56, v56, v54 :: v_dual_add_f32 v57, v57, v55
	v_dual_fmac_f32 v94, 0xbee1c552, v48 :: v_dual_fmac_f32 v97, 0xbee1c552, v49
	v_dual_fmac_f32 v96, 0xbee1c552, v48 :: v_dual_fmac_f32 v95, 0xbee1c552, v49
	v_dual_add_f32 v48, v77, v93 :: v_dual_sub_f32 v49, v78, v92
	s_delay_alu instid0(VALU_DEP_3) | instskip(NEXT) | instid1(VALU_DEP_3)
	v_dual_add_f32 v50, v97, v56 :: v_dual_add_f32 v53, v94, v91
	v_dual_sub_f32 v51, v57, v96 :: v_dual_sub_f32 v52, v90, v95
	v_dual_add_f32 v54, v95, v90 :: v_dual_add_f32 v57, v96, v57
	v_dual_sub_f32 v55, v91, v94 :: v_dual_sub_f32 v56, v56, v97
	v_dual_sub_f32 v77, v77, v93 :: v_dual_add_f32 v78, v92, v78
	global_wb scope:SCOPE_SE
	s_barrier_signal -1
	s_barrier_wait -1
	global_inv scope:SCOPE_SE
	ds_store_2addr_b64 v85, v[46:47], v[48:49] offset1:1
	ds_store_2addr_b64 v85, v[50:51], v[52:53] offset0:2 offset1:3
	ds_store_2addr_b64 v85, v[54:55], v[56:57] offset0:4 offset1:5
	ds_store_b64 v85, v[77:78] offset:48
	s_and_saveexec_b32 s0, vcc_lo
	s_cbranch_execz .LBB0_13
; %bb.12:
	v_sub_f32_e32 v46, v4, v2
	v_dual_sub_f32 v47, v0, v6 :: v_dual_add_f32 v50, v3, v5
	v_dual_add_f32 v49, v76, v41 :: v_dual_add_f32 v4, v2, v4
	v_sub_f32_e32 v3, v5, v3
	s_delay_alu instid0(VALU_DEP_3) | instskip(SKIP_2) | instid1(VALU_DEP_3)
	v_dual_sub_f32 v51, v46, v47 :: v_dual_add_f32 v52, v7, v1
	v_dual_add_f32 v0, v6, v0 :: v_dual_sub_f32 v5, v1, v7
	v_sub_f32_e32 v41, v41, v76
	v_mul_f32_e32 v51, 0x3f08b237, v51
	v_sub_f32_e32 v48, v40, v75
	v_add_f32_e32 v40, v75, v40
	v_sub_f32_e32 v2, v49, v50
	s_delay_alu instid0(VALU_DEP_3) | instskip(NEXT) | instid1(VALU_DEP_3)
	v_dual_sub_f32 v53, v48, v46 :: v_dual_add_f32 v46, v46, v47
	v_sub_f32_e32 v57, v40, v4
	s_delay_alu instid0(VALU_DEP_2) | instskip(NEXT) | instid1(VALU_DEP_3)
	v_dual_sub_f32 v6, v50, v52 :: v_dual_fmamk_f32 v55, v53, 0xbeae86e6, v51
	v_add_f32_e32 v46, v46, v48
	v_add_f32_e32 v54, v52, v49
	s_delay_alu instid0(VALU_DEP_4) | instskip(NEXT) | instid1(VALU_DEP_4)
	v_mul_f32_e32 v7, 0x3f4a47b2, v57
	v_dual_mul_f32 v56, 0x3d64c772, v6 :: v_dual_sub_f32 v57, v4, v0
	s_delay_alu instid0(VALU_DEP_4) | instskip(NEXT) | instid1(VALU_DEP_4)
	v_fmac_f32_e32 v55, 0xbee1c552, v46
	v_add_f32_e32 v54, v50, v54
	v_dual_mul_f32 v50, 0x3f4a47b2, v2 :: v_dual_sub_f32 v47, v47, v48
	s_delay_alu instid0(VALU_DEP_2) | instskip(NEXT) | instid1(VALU_DEP_2)
	v_dual_sub_f32 v49, v52, v49 :: v_dual_add_f32 v2, v43, v54
	v_dual_add_f32 v43, v0, v40 :: v_dual_fmamk_f32 v6, v6, 0x3d64c772, v50
	s_delay_alu instid0(VALU_DEP_1) | instskip(NEXT) | instid1(VALU_DEP_1)
	v_add_f32_e32 v43, v4, v43
	v_add_f32_e32 v1, v42, v43
	s_delay_alu instid0(VALU_DEP_4) | instskip(NEXT) | instid1(VALU_DEP_2)
	v_fmamk_f32 v54, v54, 0xbf955555, v2
	v_dual_fmamk_f32 v42, v43, 0xbf955555, v1 :: v_dual_sub_f32 v43, v41, v3
	s_delay_alu instid0(VALU_DEP_2) | instskip(SKIP_1) | instid1(VALU_DEP_2)
	v_dual_sub_f32 v4, v3, v5 :: v_dual_add_f32 v75, v6, v54
	v_dual_fmamk_f32 v6, v57, 0x3d64c772, v7 :: v_dual_add_f32 v3, v3, v5
	v_dual_sub_f32 v5, v5, v41 :: v_dual_mul_f32 v76, 0x3f08b237, v4
	s_delay_alu instid0(VALU_DEP_3) | instskip(NEXT) | instid1(VALU_DEP_3)
	v_add_f32_e32 v4, v55, v75
	v_dual_sub_f32 v0, v0, v40 :: v_dual_add_f32 v3, v3, v41
	s_delay_alu instid0(VALU_DEP_3) | instskip(NEXT) | instid1(VALU_DEP_2)
	v_mul_f32_e32 v41, 0xbf5ff5aa, v5
	v_fma_f32 v7, 0xbf3bfb3b, v0, -v7
	v_dual_mul_f32 v48, 0x3d64c772, v57 :: v_dual_add_f32 v57, v6, v42
	v_mul_f32_e32 v6, 0xbf5ff5aa, v47
	s_delay_alu instid0(VALU_DEP_4) | instskip(NEXT) | instid1(VALU_DEP_4)
	v_fma_f32 v52, 0x3eae86e6, v43, -v41
	v_add_f32_e32 v7, v7, v42
	s_delay_alu instid0(VALU_DEP_4) | instskip(NEXT) | instid1(VALU_DEP_4)
	v_fma_f32 v0, 0x3f3bfb3b, v0, -v48
	v_fma_f32 v40, 0x3eae86e6, v53, -v6
	;; [unrolled: 1-line block ×3, first 2 shown]
	v_fmamk_f32 v77, v43, 0xbeae86e6, v76
	v_fma_f32 v43, 0xbf5ff5aa, v47, -v51
	v_fma_f32 v51, 0xbf5ff5aa, v5, -v76
	v_fmac_f32_e32 v40, 0xbee1c552, v46
	v_add_f32_e32 v50, v6, v54
	v_fma_f32 v6, 0x3f3bfb3b, v49, -v56
	v_fmac_f32_e32 v77, 0xbee1c552, v3
	v_fmac_f32_e32 v52, 0xbee1c552, v3
	v_dual_fmac_f32 v51, 0xbee1c552, v3 :: v_dual_add_f32 v0, v0, v42
	s_delay_alu instid0(VALU_DEP_4) | instskip(SKIP_1) | instid1(VALU_DEP_4)
	v_add_f32_e32 v47, v6, v54
	v_fmac_f32_e32 v43, 0xbee1c552, v46
	v_dual_add_f32 v6, v40, v50 :: v_dual_sub_f32 v5, v7, v52
	s_delay_alu instid0(VALU_DEP_4) | instskip(SKIP_1) | instid1(VALU_DEP_4)
	v_sub_f32_e32 v42, v0, v51
	v_sub_f32_e32 v49, v75, v55
	v_dual_sub_f32 v41, v47, v43 :: v_dual_add_f32 v48, v57, v77
	v_add_f32_e32 v43, v43, v47
	v_dual_sub_f32 v47, v50, v40 :: v_dual_add_f32 v46, v52, v7
	v_lshl_add_u32 v50, v84, 3, v82
	v_dual_add_f32 v40, v51, v0 :: v_dual_sub_f32 v3, v57, v77
	ds_store_2addr_b64 v50, v[1:2], v[48:49] offset1:1
	ds_store_2addr_b64 v50, v[46:47], v[42:43] offset0:2 offset1:3
	ds_store_2addr_b64 v50, v[40:41], v[5:6] offset0:4 offset1:5
	ds_store_b64 v50, v[3:4] offset:48
.LBB0_13:
	s_wait_alu 0xfffe
	s_or_b32 exec_lo, exec_lo, s0
	global_wb scope:SCOPE_SE
	s_wait_dscnt 0x0
	s_barrier_signal -1
	s_barrier_wait -1
	global_inv scope:SCOPE_SE
	ds_load_2addr_b64 v[0:3], v80 offset0:42 offset1:63
	ds_load_2addr_b64 v[4:7], v80 offset0:126 offset1:147
	;; [unrolled: 1-line block ×3, first 2 shown]
	ds_load_b64 v[50:51], v80 offset:1344
	ds_load_2addr_b64 v[46:49], v80 offset1:21
	global_wb scope:SCOPE_SE
	s_wait_dscnt 0x0
	s_barrier_signal -1
	s_barrier_wait -1
	global_inv scope:SCOPE_SE
	s_mov_b32 s2, 0x6b015ac0
	s_mov_b32 s3, 0x3f75ac05
	v_dual_mul_f32 v52, v17, v3 :: v_dual_mul_f32 v53, v19, v5
	v_dual_mul_f32 v19, v19, v4 :: v_dual_mul_f32 v54, v13, v41
	v_mul_f32_e32 v17, v17, v2
	s_delay_alu instid0(VALU_DEP_3) | instskip(NEXT) | instid1(VALU_DEP_4)
	v_dual_mul_f32 v13, v13, v40 :: v_dual_fmac_f32 v52, v16, v2
	v_dual_mul_f32 v56, v9, v43 :: v_dual_fmac_f32 v53, v18, v4
	v_mul_f32_e32 v55, v15, v7
	v_mul_f32_e32 v15, v15, v6
	v_dual_mul_f32 v9, v9, v42 :: v_dual_fmac_f32 v54, v12, v40
	v_fma_f32 v3, v16, v3, -v17
	v_fma_f32 v5, v18, v5, -v19
	;; [unrolled: 1-line block ×3, first 2 shown]
	v_fmac_f32_e32 v56, v8, v42
	v_dual_fmac_f32 v55, v14, v6 :: v_dual_add_f32 v4, v52, v53
	v_fma_f32 v13, v14, v7, -v15
	v_mul_f32_e32 v14, v11, v51
	v_fma_f32 v15, v8, v43, -v9
	v_sub_f32_e32 v8, v3, v5
	v_dual_add_f32 v6, v46, v52 :: v_dual_add_f32 v9, v47, v3
	v_mul_f32_e32 v2, v11, v50
	v_dual_fmac_f32 v14, v10, v50 :: v_dual_add_f32 v7, v3, v5
	v_sub_f32_e32 v11, v12, v13
	s_delay_alu instid0(VALU_DEP_4) | instskip(NEXT) | instid1(VALU_DEP_4)
	v_add_f32_e32 v5, v9, v5
	v_fma_f32 v16, v10, v51, -v2
	v_fma_f32 v2, -0.5, v4, v46
	v_dual_add_f32 v4, v6, v53 :: v_dual_add_f32 v9, v48, v54
	v_fma_f32 v3, -0.5, v7, v47
	v_sub_f32_e32 v10, v52, v53
	s_delay_alu instid0(VALU_DEP_4) | instskip(SKIP_3) | instid1(VALU_DEP_2)
	v_fmamk_f32 v6, v8, 0xbf5db3d7, v2
	v_fmac_f32_e32 v2, 0x3f5db3d7, v8
	v_dual_add_f32 v8, v54, v55 :: v_dual_add_f32 v17, v0, v56
	v_sub_f32_e32 v18, v56, v14
	v_fma_f32 v48, -0.5, v8, v48
	v_add_f32_e32 v8, v9, v55
	v_add_f32_e32 v9, v49, v12
	v_fmamk_f32 v7, v10, 0x3f5db3d7, v3
	v_dual_fmac_f32 v3, 0xbf5db3d7, v10 :: v_dual_add_f32 v10, v12, v13
	s_delay_alu instid0(VALU_DEP_3) | instskip(SKIP_1) | instid1(VALU_DEP_3)
	v_dual_sub_f32 v12, v54, v55 :: v_dual_add_f32 v9, v9, v13
	v_add_f32_e32 v13, v56, v14
	v_dual_fmac_f32 v49, -0.5, v10 :: v_dual_fmamk_f32 v10, v11, 0xbf5db3d7, v48
	v_fmac_f32_e32 v48, 0x3f5db3d7, v11
	s_delay_alu instid0(VALU_DEP_3) | instskip(SKIP_1) | instid1(VALU_DEP_4)
	v_fma_f32 v0, -0.5, v13, v0
	v_sub_f32_e32 v13, v15, v16
	v_fmamk_f32 v11, v12, 0x3f5db3d7, v49
	v_fmac_f32_e32 v49, 0xbf5db3d7, v12
	v_dual_add_f32 v12, v15, v16 :: v_dual_add_f32 v15, v1, v15
	s_delay_alu instid0(VALU_DEP_1) | instskip(SKIP_1) | instid1(VALU_DEP_3)
	v_dual_fmac_f32 v1, -0.5, v12 :: v_dual_add_f32 v12, v17, v14
	v_fmamk_f32 v14, v13, 0xbf5db3d7, v0
	v_dual_fmac_f32 v0, 0x3f5db3d7, v13 :: v_dual_add_f32 v13, v15, v16
	s_delay_alu instid0(VALU_DEP_3)
	v_fmamk_f32 v15, v18, 0x3f5db3d7, v1
	v_fmac_f32_e32 v1, 0xbf5db3d7, v18
	ds_store_2addr_b64 v88, v[4:5], v[6:7] offset1:7
	ds_store_b64 v88, v[2:3] offset:112
	ds_store_2addr_b64 v87, v[8:9], v[10:11] offset1:7
	ds_store_b64 v87, v[48:49] offset:112
	;; [unrolled: 2-line block ×3, first 2 shown]
	global_wb scope:SCOPE_SE
	s_wait_dscnt 0x0
	s_barrier_signal -1
	s_barrier_wait -1
	global_inv scope:SCOPE_SE
	ds_load_2addr_b64 v[0:3], v80 offset0:42 offset1:63
	ds_load_2addr_b64 v[4:7], v80 offset0:126 offset1:147
	;; [unrolled: 1-line block ×3, first 2 shown]
	ds_load_b64 v[16:17], v80 offset:1344
	ds_load_2addr_b64 v[12:15], v80 offset1:21
	global_wb scope:SCOPE_SE
	s_wait_dscnt 0x0
	s_barrier_signal -1
	s_barrier_wait -1
	global_inv scope:SCOPE_SE
	v_mul_f32_e32 v18, v25, v3
	v_dual_mul_f32 v40, v27, v5 :: v_dual_mul_f32 v19, v25, v2
	s_delay_alu instid0(VALU_DEP_2) | instskip(SKIP_1) | instid1(VALU_DEP_3)
	v_fmac_f32_e32 v18, v24, v2
	v_mul_f32_e32 v2, v27, v4
	v_fma_f32 v3, v24, v3, -v19
	s_delay_alu instid0(VALU_DEP_4) | instskip(SKIP_1) | instid1(VALU_DEP_4)
	v_dual_mul_f32 v19, v25, v9 :: v_dual_fmac_f32 v40, v26, v4
	v_mul_f32_e32 v4, v25, v8
	v_fma_f32 v5, v26, v5, -v2
	v_mul_f32_e32 v25, v27, v7
	s_delay_alu instid0(VALU_DEP_4) | instskip(NEXT) | instid1(VALU_DEP_2)
	v_dual_fmac_f32 v19, v24, v8 :: v_dual_mul_f32 v2, v27, v6
	v_dual_sub_f32 v8, v3, v5 :: v_dual_fmac_f32 v25, v26, v6
	v_fma_f32 v9, v24, v9, -v4
	v_mul_f32_e32 v24, v21, v11
	v_mul_f32_e32 v4, v21, v10
	v_fma_f32 v21, v26, v7, -v2
	v_add_f32_e32 v7, v3, v5
	v_mul_f32_e32 v2, v23, v16
	v_fmac_f32_e32 v24, v20, v10
	v_fma_f32 v20, v20, v11, -v4
	v_add_f32_e32 v10, v13, v3
	v_fma_f32 v3, -0.5, v7, v13
	v_dual_sub_f32 v11, v18, v40 :: v_dual_mul_f32 v26, v23, v17
	v_dual_add_f32 v4, v18, v40 :: v_dual_sub_f32 v13, v19, v25
	s_delay_alu instid0(VALU_DEP_2)
	v_fmamk_f32 v7, v11, 0x3f5db3d7, v3
	v_fmac_f32_e32 v3, 0xbf5db3d7, v11
	v_dual_add_f32 v11, v9, v21 :: v_dual_add_f32 v6, v12, v18
	v_fmac_f32_e32 v26, v22, v16
	v_fma_f32 v17, v22, v17, -v2
	v_fma_f32 v2, -0.5, v4, v12
	v_sub_f32_e32 v12, v9, v21
	v_add_f32_e32 v9, v15, v9
	v_dual_fmac_f32 v15, -0.5, v11 :: v_dual_add_f32 v4, v6, v40
	v_sub_f32_e32 v18, v20, v17
	s_delay_alu instid0(VALU_DEP_3) | instskip(NEXT) | instid1(VALU_DEP_3)
	v_add_f32_e32 v9, v9, v21
	v_fmamk_f32 v11, v13, 0x3f5db3d7, v15
	v_fmamk_f32 v6, v8, 0xbf5db3d7, v2
	v_fmac_f32_e32 v2, 0x3f5db3d7, v8
	v_add_f32_e32 v8, v19, v25
	v_fmac_f32_e32 v15, 0xbf5db3d7, v13
	v_add_f32_e32 v13, v20, v17
	v_add_f32_e32 v5, v10, v5
	v_dual_add_f32 v10, v14, v19 :: v_dual_add_f32 v19, v1, v20
	v_fma_f32 v14, -0.5, v8, v14
	s_delay_alu instid0(VALU_DEP_4) | instskip(NEXT) | instid1(VALU_DEP_3)
	v_dual_fmac_f32 v1, -0.5, v13 :: v_dual_sub_f32 v20, v24, v26
	v_add_f32_e32 v8, v10, v25
	s_delay_alu instid0(VALU_DEP_4) | instskip(NEXT) | instid1(VALU_DEP_3)
	v_dual_add_f32 v16, v0, v24 :: v_dual_add_f32 v13, v19, v17
	v_fmamk_f32 v17, v20, 0x3f5db3d7, v1
	v_fmamk_f32 v10, v12, 0xbf5db3d7, v14
	v_fmac_f32_e32 v14, 0x3f5db3d7, v12
	v_dual_add_f32 v12, v24, v26 :: v_dual_fmac_f32 v1, 0xbf5db3d7, v20
	s_delay_alu instid0(VALU_DEP_1) | instskip(SKIP_1) | instid1(VALU_DEP_2)
	v_fma_f32 v0, -0.5, v12, v0
	v_add_f32_e32 v12, v16, v26
	v_fmamk_f32 v16, v18, 0xbf5db3d7, v0
	v_fmac_f32_e32 v0, 0x3f5db3d7, v18
	ds_store_2addr_b64 v80, v[4:5], v[6:7] offset1:21
	ds_store_2addr_b64 v80, v[2:3], v[8:9] offset0:42 offset1:63
	ds_store_2addr_b64 v80, v[10:11], v[14:15] offset0:84 offset1:105
	;; [unrolled: 1-line block ×3, first 2 shown]
	ds_store_b64 v89, v[0:1] offset:1344
	global_wb scope:SCOPE_SE
	s_wait_dscnt 0x0
	s_barrier_signal -1
	s_barrier_wait -1
	global_inv scope:SCOPE_SE
	ds_load_2addr_b64 v[0:3], v80 offset0:42 offset1:63
	ds_load_2addr_b64 v[4:7], v80 offset0:126 offset1:147
	ds_load_2addr_b64 v[8:11], v80 offset0:84 offset1:105
	ds_load_b64 v[16:17], v80 offset:1344
	ds_load_2addr_b64 v[12:15], v80 offset1:21
	s_wait_dscnt 0x4
	v_mul_f32_e32 v18, v37, v3
	s_wait_dscnt 0x3
	v_dual_mul_f32 v19, v37, v2 :: v_dual_mul_f32 v20, v39, v5
	v_mul_f32_e32 v21, v35, v7
	s_wait_dscnt 0x2
	v_mul_f32_e32 v22, v29, v11
	v_fmac_f32_e32 v18, v36, v2
	v_mul_f32_e32 v2, v39, v4
	v_fma_f32 v3, v36, v3, -v19
	v_dual_mul_f32 v19, v33, v9 :: v_dual_fmac_f32 v20, v38, v4
	v_fmac_f32_e32 v21, v34, v6
	s_delay_alu instid0(VALU_DEP_4) | instskip(NEXT) | instid1(VALU_DEP_3)
	v_fma_f32 v5, v38, v5, -v2
	v_dual_mul_f32 v2, v35, v6 :: v_dual_fmac_f32 v19, v32, v8
	v_mul_f32_e32 v4, v33, v8
	s_delay_alu instid0(VALU_DEP_3) | instskip(NEXT) | instid1(VALU_DEP_3)
	v_sub_f32_e32 v8, v3, v5
	v_fma_f32 v23, v34, v7, -v2
	v_add_f32_e32 v7, v3, v5
	s_delay_alu instid0(VALU_DEP_4) | instskip(SKIP_1) | instid1(VALU_DEP_1)
	v_fma_f32 v9, v32, v9, -v4
	v_mul_f32_e32 v4, v29, v10
	v_fma_f32 v25, v28, v11, -v4
	v_fmac_f32_e32 v22, v28, v10
	s_wait_dscnt 0x1
	v_mul_f32_e32 v2, v31, v16
	s_wait_dscnt 0x0
	v_add_f32_e32 v10, v13, v3
	v_fma_f32 v3, -0.5, v7, v13
	v_sub_f32_e32 v11, v18, v20
	v_sub_f32_e32 v13, v19, v21
	v_mul_f32_e32 v24, v31, v17
	v_fma_f32 v17, v30, v17, -v2
	v_add_f32_e32 v5, v10, v5
	v_fmamk_f32 v7, v11, 0x3f5db3d7, v3
	v_fmac_f32_e32 v3, 0xbf5db3d7, v11
	v_dual_add_f32 v11, v9, v23 :: v_dual_add_f32 v4, v18, v20
	v_add_f32_e32 v6, v12, v18
	v_add_f32_e32 v10, v14, v19
	v_mad_co_u64_u32 v[28:29], null, s6, v60, 0
	s_delay_alu instid0(VALU_DEP_4) | instskip(SKIP_2) | instid1(VALU_DEP_3)
	v_fma_f32 v2, -0.5, v4, v12
	v_dual_sub_f32 v12, v9, v23 :: v_dual_add_f32 v9, v15, v9
	v_dual_fmac_f32 v15, -0.5, v11 :: v_dual_add_f32 v4, v6, v20
	v_fmamk_f32 v6, v8, 0xbf5db3d7, v2
	v_fmac_f32_e32 v2, 0x3f5db3d7, v8
	s_delay_alu instid0(VALU_DEP_3) | instskip(SKIP_3) | instid1(VALU_DEP_4)
	v_dual_add_f32 v8, v19, v21 :: v_dual_fmamk_f32 v11, v13, 0x3f5db3d7, v15
	v_fmac_f32_e32 v15, 0xbf5db3d7, v13
	v_add_f32_e32 v13, v25, v17
	v_add_f32_e32 v19, v1, v25
	v_fma_f32 v14, -0.5, v8, v14
	v_sub_f32_e32 v18, v25, v17
	v_add_f32_e32 v9, v9, v23
	v_dual_fmac_f32 v1, -0.5, v13 :: v_dual_fmac_f32 v24, v30, v16
	v_mad_co_u64_u32 v[30:31], null, s4, v81, 0
	v_dual_add_f32 v13, v19, v17 :: v_dual_add_f32 v16, v0, v22
	s_delay_alu instid0(VALU_DEP_3) | instskip(NEXT) | instid1(VALU_DEP_3)
	v_sub_f32_e32 v20, v22, v24
	v_mad_co_u64_u32 v[32:33], null, s7, v60, v[29:30]
	s_delay_alu instid0(VALU_DEP_2) | instskip(SKIP_4) | instid1(VALU_DEP_3)
	v_fmamk_f32 v17, v20, 0x3f5db3d7, v1
	v_fmac_f32_e32 v1, 0xbf5db3d7, v20
	s_mul_u64 s[6:7], s[4:5], 27
	s_wait_alu 0xfffe
	s_lshl_b64 s[6:7], s[6:7], 3
	v_dual_mov_b32 v29, v32 :: v_dual_add_f32 v8, v10, v21
	v_fmamk_f32 v10, v12, 0xbf5db3d7, v14
	v_fmac_f32_e32 v14, 0x3f5db3d7, v12
	v_add_f32_e32 v12, v22, v24
	v_mad_co_u64_u32 v[31:32], null, s5, v81, v[31:32]
	v_lshlrev_b64_e32 v[28:29], 3, v[28:29]
	s_delay_alu instid0(VALU_DEP_3) | instskip(SKIP_1) | instid1(VALU_DEP_2)
	v_fma_f32 v0, -0.5, v12, v0
	v_add_f32_e32 v12, v16, v24
	v_fmamk_f32 v16, v18, 0xbf5db3d7, v0
	v_fmac_f32_e32 v0, 0x3f5db3d7, v18
	ds_store_b64 v80, v[4:5]
	ds_store_2addr_b64 v83, v[6:7], v[2:3] offset0:63 offset1:126
	ds_store_b64 v83, v[8:9] offset:168
	ds_store_2addr_b64 v45, v[10:11], v[14:15] offset0:63 offset1:126
	ds_store_b64 v83, v[12:13] offset:336
	ds_store_2addr_b64 v44, v[16:17], v[0:1] offset0:63 offset1:126
	global_wb scope:SCOPE_SE
	s_wait_dscnt 0x0
	s_barrier_signal -1
	s_barrier_wait -1
	global_inv scope:SCOPE_SE
	ds_load_2addr_b64 v[0:3], v80 offset1:27
	ds_load_2addr_b64 v[4:7], v80 offset0:54 offset1:81
	ds_load_2addr_b64 v[8:11], v80 offset0:108 offset1:135
	s_wait_dscnt 0x2
	v_mul_f32_e32 v12, v68, v1
	v_dual_mul_f32 v13, v68, v0 :: v_dual_mul_f32 v14, v70, v3
	v_mul_f32_e32 v15, v70, v2
	s_wait_dscnt 0x0
	v_mul_f32_e32 v22, v66, v9
	v_fmac_f32_e32 v12, v67, v0
	v_fma_f32 v13, v67, v1, -v13
	v_fmac_f32_e32 v14, v69, v2
	v_fma_f32 v16, v69, v3, -v15
	v_mul_f32_e32 v18, v62, v5
	v_cvt_f64_f32_e32 v[0:1], v12
	v_cvt_f64_f32_e32 v[2:3], v13
	;; [unrolled: 1-line block ×3, first 2 shown]
	ds_load_b64 v[14:15], v80 offset:1296
	v_dual_mul_f32 v19, v62, v4 :: v_dual_mul_f32 v20, v64, v7
	v_dual_mul_f32 v21, v64, v6 :: v_dual_fmac_f32 v22, v65, v8
	v_dual_mul_f32 v8, v66, v8 :: v_dual_mul_f32 v25, v72, v10
	v_mul_f32_e32 v24, v72, v11
	v_fmac_f32_e32 v18, v61, v4
	v_fma_f32 v19, v61, v5, -v19
	v_fmac_f32_e32 v20, v63, v6
	v_fma_f32 v21, v63, v7, -v21
	v_fma_f32 v8, v65, v9, -v8
	;; [unrolled: 1-line block ×3, first 2 shown]
	v_fmac_f32_e32 v24, v71, v10
	v_cvt_f64_f32_e32 v[16:17], v16
	v_cvt_f64_f32_e32 v[4:5], v18
	;; [unrolled: 1-line block ×5, first 2 shown]
	s_wait_dscnt 0x0
	v_mul_f32_e32 v26, v74, v15
	v_mul_f32_e32 v27, v74, v14
	v_cvt_f64_f32_e32 v[8:9], v8
	v_cvt_f64_f32_e32 v[22:23], v22
	;; [unrolled: 1-line block ×3, first 2 shown]
	v_fmac_f32_e32 v26, v73, v14
	v_fma_f32 v27, v73, v15, -v27
	v_cvt_f64_f32_e32 v[14:15], v25
	s_delay_alu instid0(VALU_DEP_3) | instskip(NEXT) | instid1(VALU_DEP_3)
	v_cvt_f64_f32_e32 v[24:25], v26
	v_cvt_f64_f32_e32 v[26:27], v27
	v_mul_f64_e32 v[0:1], s[2:3], v[0:1]
	v_mul_f64_e32 v[2:3], s[2:3], v[2:3]
	;; [unrolled: 1-line block ×14, first 2 shown]
	v_cvt_f32_f64_e32 v0, v[0:1]
	v_cvt_f32_f64_e32 v1, v[2:3]
	v_add_co_u32 v2, s0, s10, v28
	s_wait_alu 0xf1ff
	v_add_co_ci_u32_e64 v3, s0, s11, v29, s0
	v_lshlrev_b64_e32 v[28:29], 3, v[30:31]
	v_cvt_f32_f64_e32 v12, v[12:13]
	v_cvt_f32_f64_e32 v13, v[16:17]
	;; [unrolled: 1-line block ×10, first 2 shown]
	v_add_co_u32 v14, s0, v2, v28
	s_wait_alu 0xf1ff
	v_add_co_ci_u32_e64 v15, s0, v3, v29, s0
	v_cvt_f32_f64_e32 v10, v[24:25]
	v_cvt_f32_f64_e32 v11, v[26:27]
	s_wait_alu 0xfffe
	v_add_co_u32 v18, s0, v14, s6
	s_wait_alu 0xf1ff
	v_add_co_ci_u32_e64 v19, s0, s7, v15, s0
	global_store_b64 v[14:15], v[0:1], off
	v_add_co_u32 v20, s0, v18, s6
	s_wait_alu 0xf1ff
	v_add_co_ci_u32_e64 v21, s0, s7, v19, s0
	s_delay_alu instid0(VALU_DEP_2) | instskip(SKIP_1) | instid1(VALU_DEP_2)
	v_add_co_u32 v22, s0, v20, s6
	s_wait_alu 0xf1ff
	v_add_co_ci_u32_e64 v23, s0, s7, v21, s0
	s_delay_alu instid0(VALU_DEP_2) | instskip(SKIP_1) | instid1(VALU_DEP_2)
	v_add_co_u32 v24, s0, v22, s6
	s_wait_alu 0xf1ff
	v_add_co_ci_u32_e64 v25, s0, s7, v23, s0
	global_store_b64 v[18:19], v[12:13], off
	v_add_co_u32 v14, s0, v24, s6
	s_wait_alu 0xf1ff
	v_add_co_ci_u32_e64 v15, s0, s7, v25, s0
	s_delay_alu instid0(VALU_DEP_2) | instskip(SKIP_1) | instid1(VALU_DEP_2)
	v_add_co_u32 v0, s0, v14, s6
	s_wait_alu 0xf1ff
	v_add_co_ci_u32_e64 v1, s0, s7, v15, s0
	s_clause 0x2
	global_store_b64 v[20:21], v[4:5], off
	global_store_b64 v[22:23], v[6:7], off
	;; [unrolled: 1-line block ×5, first 2 shown]
	s_and_b32 exec_lo, exec_lo, vcc_lo
	s_cbranch_execz .LBB0_15
; %bb.14:
	s_clause 0x5
	global_load_b64 v[16:17], v[58:59], off offset:168
	global_load_b64 v[18:19], v[58:59], off offset:384
	;; [unrolled: 1-line block ×6, first 2 shown]
	ds_load_b64 v[28:29], v83 offset:168
	ds_load_2addr_b64 v[4:7], v80 offset0:48 offset1:75
	ds_load_2addr_b64 v[8:11], v80 offset0:102 offset1:129
	;; [unrolled: 1-line block ×3, first 2 shown]
	v_mad_co_u64_u32 v[0:1], null, 0xfffffb98, s4, v[0:1]
	s_mul_i32 s0, s5, 0xfffffb98
	s_wait_alu 0xfffe
	s_sub_co_i32 s0, s0, s4
	s_wait_alu 0xfffe
	s_delay_alu instid0(VALU_DEP_1)
	v_add_nc_u32_e32 v1, s0, v1
	s_wait_loadcnt_dscnt 0x503
	v_mul_f32_e32 v30, v29, v17
	s_wait_loadcnt_dscnt 0x302
	v_dual_mul_f32 v31, v5, v19 :: v_dual_mul_f32 v32, v7, v21
	v_mul_f32_e32 v17, v28, v17
	v_mul_f32_e32 v19, v4, v19
	v_dual_mul_f32 v21, v6, v21 :: v_dual_fmac_f32 v30, v28, v16
	s_wait_loadcnt_dscnt 0x101
	v_dual_mul_f32 v33, v9, v23 :: v_dual_mul_f32 v34, v11, v25
	v_mul_f32_e32 v23, v8, v23
	v_mul_f32_e32 v25, v10, v25
	s_wait_loadcnt_dscnt 0x0
	v_mul_f32_e32 v35, v13, v27
	v_dual_mul_f32 v27, v12, v27 :: v_dual_fmac_f32 v32, v6, v20
	v_fma_f32 v16, v16, v29, -v17
	v_fmac_f32_e32 v31, v4, v18
	v_fma_f32 v17, v18, v5, -v19
	v_fma_f32 v18, v20, v7, -v21
	v_dual_fmac_f32 v33, v8, v22 :: v_dual_fmac_f32 v34, v10, v24
	v_fma_f32 v20, v22, v9, -v23
	v_fma_f32 v24, v24, v11, -v25
	v_fmac_f32_e32 v35, v12, v26
	v_fma_f32 v28, v26, v13, -v27
	v_cvt_f64_f32_e32 v[4:5], v30
	v_cvt_f64_f32_e32 v[6:7], v16
	;; [unrolled: 1-line block ×12, first 2 shown]
	v_mad_co_u64_u32 v[30:31], null, 0x1b0, s4, v[0:1]
	v_mad_co_u64_u32 v[32:33], null, s4, v79, 0
	v_mul_f64_e32 v[4:5], s[2:3], v[4:5]
	v_mul_f64_e32 v[6:7], s[2:3], v[6:7]
	;; [unrolled: 1-line block ×12, first 2 shown]
	v_cvt_f32_f64_e32 v4, v[4:5]
	v_cvt_f32_f64_e32 v5, v[6:7]
	;; [unrolled: 1-line block ×12, first 2 shown]
	v_mad_co_u64_u32 v[19:20], null, 0x1b0, s5, v[31:32]
	v_mov_b32_e32 v18, v33
	s_delay_alu instid0(VALU_DEP_1) | instskip(SKIP_3) | instid1(VALU_DEP_2)
	v_mad_co_u64_u32 v[20:21], null, s5, v79, v[18:19]
	v_mov_b32_e32 v31, v19
	v_add_co_u32 v18, vcc_lo, v30, s6
	s_wait_alu 0xfffd
	v_add_co_ci_u32_e32 v19, vcc_lo, s7, v31, vcc_lo
	s_delay_alu instid0(VALU_DEP_4) | instskip(NEXT) | instid1(VALU_DEP_3)
	v_mov_b32_e32 v33, v20
	v_add_co_u32 v22, vcc_lo, v18, s6
	s_wait_alu 0xfffd
	s_delay_alu instid0(VALU_DEP_3) | instskip(NEXT) | instid1(VALU_DEP_3)
	v_add_co_ci_u32_e32 v23, vcc_lo, s7, v19, vcc_lo
	v_lshlrev_b64_e32 v[20:21], 3, v[32:33]
	s_delay_alu instid0(VALU_DEP_1) | instskip(SKIP_1) | instid1(VALU_DEP_2)
	v_add_co_u32 v2, vcc_lo, v2, v20
	s_wait_alu 0xfffd
	v_add_co_ci_u32_e32 v3, vcc_lo, v3, v21, vcc_lo
	v_add_co_u32 v20, vcc_lo, v22, s6
	s_wait_alu 0xfffd
	v_add_co_ci_u32_e32 v21, vcc_lo, s7, v23, vcc_lo
	global_store_b64 v[0:1], v[4:5], off
	global_store_b64 v[2:3], v[6:7], off
	;; [unrolled: 1-line block ×6, first 2 shown]
	global_load_b64 v[0:1], v[58:59], off offset:1464
	s_wait_loadcnt 0x0
	v_mul_f32_e32 v2, v15, v1
	v_mul_f32_e32 v1, v14, v1
	s_delay_alu instid0(VALU_DEP_2) | instskip(NEXT) | instid1(VALU_DEP_2)
	v_fmac_f32_e32 v2, v14, v0
	v_fma_f32 v3, v0, v15, -v1
	s_delay_alu instid0(VALU_DEP_2) | instskip(NEXT) | instid1(VALU_DEP_2)
	v_cvt_f64_f32_e32 v[0:1], v2
	v_cvt_f64_f32_e32 v[2:3], v3
	s_delay_alu instid0(VALU_DEP_2) | instskip(NEXT) | instid1(VALU_DEP_2)
	v_mul_f64_e32 v[0:1], s[2:3], v[0:1]
	v_mul_f64_e32 v[2:3], s[2:3], v[2:3]
	s_delay_alu instid0(VALU_DEP_2) | instskip(NEXT) | instid1(VALU_DEP_2)
	v_cvt_f32_f64_e32 v0, v[0:1]
	v_cvt_f32_f64_e32 v1, v[2:3]
	v_add_co_u32 v2, vcc_lo, v20, s6
	s_wait_alu 0xfffd
	v_add_co_ci_u32_e32 v3, vcc_lo, s7, v21, vcc_lo
	global_store_b64 v[2:3], v[0:1], off
.LBB0_15:
	s_nop 0
	s_sendmsg sendmsg(MSG_DEALLOC_VGPRS)
	s_endpgm
	.section	.rodata,"a",@progbits
	.p2align	6, 0x0
	.amdhsa_kernel bluestein_single_fwd_len189_dim1_sp_op_CI_CI
		.amdhsa_group_segment_fixed_size 4536
		.amdhsa_private_segment_fixed_size 0
		.amdhsa_kernarg_size 104
		.amdhsa_user_sgpr_count 2
		.amdhsa_user_sgpr_dispatch_ptr 0
		.amdhsa_user_sgpr_queue_ptr 0
		.amdhsa_user_sgpr_kernarg_segment_ptr 1
		.amdhsa_user_sgpr_dispatch_id 0
		.amdhsa_user_sgpr_private_segment_size 0
		.amdhsa_wavefront_size32 1
		.amdhsa_uses_dynamic_stack 0
		.amdhsa_enable_private_segment 0
		.amdhsa_system_sgpr_workgroup_id_x 1
		.amdhsa_system_sgpr_workgroup_id_y 0
		.amdhsa_system_sgpr_workgroup_id_z 0
		.amdhsa_system_sgpr_workgroup_info 0
		.amdhsa_system_vgpr_workitem_id 0
		.amdhsa_next_free_vgpr 111
		.amdhsa_next_free_sgpr 16
		.amdhsa_reserve_vcc 1
		.amdhsa_float_round_mode_32 0
		.amdhsa_float_round_mode_16_64 0
		.amdhsa_float_denorm_mode_32 3
		.amdhsa_float_denorm_mode_16_64 3
		.amdhsa_fp16_overflow 0
		.amdhsa_workgroup_processor_mode 1
		.amdhsa_memory_ordered 1
		.amdhsa_forward_progress 0
		.amdhsa_round_robin_scheduling 0
		.amdhsa_exception_fp_ieee_invalid_op 0
		.amdhsa_exception_fp_denorm_src 0
		.amdhsa_exception_fp_ieee_div_zero 0
		.amdhsa_exception_fp_ieee_overflow 0
		.amdhsa_exception_fp_ieee_underflow 0
		.amdhsa_exception_fp_ieee_inexact 0
		.amdhsa_exception_int_div_zero 0
	.end_amdhsa_kernel
	.text
.Lfunc_end0:
	.size	bluestein_single_fwd_len189_dim1_sp_op_CI_CI, .Lfunc_end0-bluestein_single_fwd_len189_dim1_sp_op_CI_CI
                                        ; -- End function
	.section	.AMDGPU.csdata,"",@progbits
; Kernel info:
; codeLenInByte = 9836
; NumSgprs: 18
; NumVgprs: 111
; ScratchSize: 0
; MemoryBound: 0
; FloatMode: 240
; IeeeMode: 1
; LDSByteSize: 4536 bytes/workgroup (compile time only)
; SGPRBlocks: 2
; VGPRBlocks: 13
; NumSGPRsForWavesPerEU: 18
; NumVGPRsForWavesPerEU: 111
; Occupancy: 12
; WaveLimiterHint : 1
; COMPUTE_PGM_RSRC2:SCRATCH_EN: 0
; COMPUTE_PGM_RSRC2:USER_SGPR: 2
; COMPUTE_PGM_RSRC2:TRAP_HANDLER: 0
; COMPUTE_PGM_RSRC2:TGID_X_EN: 1
; COMPUTE_PGM_RSRC2:TGID_Y_EN: 0
; COMPUTE_PGM_RSRC2:TGID_Z_EN: 0
; COMPUTE_PGM_RSRC2:TIDIG_COMP_CNT: 0
	.text
	.p2alignl 7, 3214868480
	.fill 96, 4, 3214868480
	.type	__hip_cuid_5f43d37e5e938f8f,@object ; @__hip_cuid_5f43d37e5e938f8f
	.section	.bss,"aw",@nobits
	.globl	__hip_cuid_5f43d37e5e938f8f
__hip_cuid_5f43d37e5e938f8f:
	.byte	0                               ; 0x0
	.size	__hip_cuid_5f43d37e5e938f8f, 1

	.ident	"AMD clang version 19.0.0git (https://github.com/RadeonOpenCompute/llvm-project roc-6.4.0 25133 c7fe45cf4b819c5991fe208aaa96edf142730f1d)"
	.section	".note.GNU-stack","",@progbits
	.addrsig
	.addrsig_sym __hip_cuid_5f43d37e5e938f8f
	.amdgpu_metadata
---
amdhsa.kernels:
  - .args:
      - .actual_access:  read_only
        .address_space:  global
        .offset:         0
        .size:           8
        .value_kind:     global_buffer
      - .actual_access:  read_only
        .address_space:  global
        .offset:         8
        .size:           8
        .value_kind:     global_buffer
      - .actual_access:  read_only
        .address_space:  global
        .offset:         16
        .size:           8
        .value_kind:     global_buffer
      - .actual_access:  read_only
        .address_space:  global
        .offset:         24
        .size:           8
        .value_kind:     global_buffer
      - .actual_access:  read_only
        .address_space:  global
        .offset:         32
        .size:           8
        .value_kind:     global_buffer
      - .offset:         40
        .size:           8
        .value_kind:     by_value
      - .address_space:  global
        .offset:         48
        .size:           8
        .value_kind:     global_buffer
      - .address_space:  global
        .offset:         56
        .size:           8
        .value_kind:     global_buffer
      - .address_space:  global
        .offset:         64
        .size:           8
        .value_kind:     global_buffer
      - .address_space:  global
        .offset:         72
        .size:           8
        .value_kind:     global_buffer
      - .offset:         80
        .size:           4
        .value_kind:     by_value
      - .address_space:  global
        .offset:         88
        .size:           8
        .value_kind:     global_buffer
      - .address_space:  global
        .offset:         96
        .size:           8
        .value_kind:     global_buffer
    .group_segment_fixed_size: 4536
    .kernarg_segment_align: 8
    .kernarg_segment_size: 104
    .language:       OpenCL C
    .language_version:
      - 2
      - 0
    .max_flat_workgroup_size: 63
    .name:           bluestein_single_fwd_len189_dim1_sp_op_CI_CI
    .private_segment_fixed_size: 0
    .sgpr_count:     18
    .sgpr_spill_count: 0
    .symbol:         bluestein_single_fwd_len189_dim1_sp_op_CI_CI.kd
    .uniform_work_group_size: 1
    .uses_dynamic_stack: false
    .vgpr_count:     111
    .vgpr_spill_count: 0
    .wavefront_size: 32
    .workgroup_processor_mode: 1
amdhsa.target:   amdgcn-amd-amdhsa--gfx1201
amdhsa.version:
  - 1
  - 2
...

	.end_amdgpu_metadata
